;; amdgpu-corpus repo=ROCm/rocFFT kind=compiled arch=gfx1030 opt=O3
	.text
	.amdgcn_target "amdgcn-amd-amdhsa--gfx1030"
	.amdhsa_code_object_version 6
	.protected	bluestein_single_fwd_len847_dim1_half_op_CI_CI ; -- Begin function bluestein_single_fwd_len847_dim1_half_op_CI_CI
	.globl	bluestein_single_fwd_len847_dim1_half_op_CI_CI
	.p2align	8
	.type	bluestein_single_fwd_len847_dim1_half_op_CI_CI,@function
bluestein_single_fwd_len847_dim1_half_op_CI_CI: ; @bluestein_single_fwd_len847_dim1_half_op_CI_CI
; %bb.0:
	s_load_dwordx4 s[12:15], s[4:5], 0x28
	v_mul_u32_u24_e32 v1, 0x354, v0
	s_mov_b32 s0, exec_lo
	v_lshrrev_b32_e32 v1, 16, v1
	v_mad_u64_u32 v[16:17], null, s6, 3, v[1:2]
	v_mov_b32_e32 v17, 0
	s_waitcnt lgkmcnt(0)
	v_cmpx_gt_u64_e64 s[12:13], v[16:17]
	s_cbranch_execz .LBB0_10
; %bb.1:
	s_clause 0x1
	s_load_dwordx4 s[8:11], s[4:5], 0x18
	s_load_dwordx4 s[0:3], s[4:5], 0x0
	v_mul_lo_u16 v1, 0x4d, v1
	s_load_dwordx2 s[4:5], s[4:5], 0x38
	v_sub_nc_u16 v6, v0, v1
	v_and_b32_e32 v46, 0xffff, v6
	s_waitcnt lgkmcnt(0)
	s_load_dwordx4 s[16:19], s[8:9], 0x0
	s_waitcnt lgkmcnt(0)
	v_mad_u64_u32 v[0:1], null, s18, v16, 0
	v_mad_u64_u32 v[2:3], null, s16, v46, 0
	s_mul_hi_u32 s7, s16, 0x134
	s_mul_i32 s8, s16, 0x134
	v_mad_u64_u32 v[4:5], null, s19, v16, v[1:2]
	v_mad_u64_u32 v[7:8], null, s17, v46, v[3:4]
	v_mov_b32_e32 v1, v4
	v_lshlrev_b32_e32 v4, 2, v46
	v_lshlrev_b64 v[0:1], 2, v[0:1]
	v_mov_b32_e32 v3, v7
	v_add_co_u32 v51, s6, s0, v4
	v_add_co_ci_u32_e64 v52, null, s1, 0, s6
	v_lshlrev_b64 v[2:3], 2, v[2:3]
	v_add_co_u32 v0, vcc_lo, s14, v0
	v_add_co_ci_u32_e32 v1, vcc_lo, s15, v1, vcc_lo
	s_mul_i32 s6, s17, 0x134
	v_add_co_u32 v0, vcc_lo, v0, v2
	v_add_co_ci_u32_e32 v1, vcc_lo, v1, v3, vcc_lo
	s_add_i32 s7, s7, s6
	v_add_co_u32 v2, vcc_lo, v0, s8
	v_add_co_ci_u32_e32 v3, vcc_lo, s7, v1, vcc_lo
	s_clause 0x1
	global_load_dword v5, v[0:1], off
	global_load_dword v8, v[2:3], off
	v_add_co_u32 v0, vcc_lo, v2, s8
	v_add_co_ci_u32_e32 v1, vcc_lo, s7, v3, vcc_lo
	v_add_co_u32 v2, vcc_lo, v0, s8
	v_add_co_ci_u32_e32 v3, vcc_lo, s7, v1, vcc_lo
	s_clause 0x6
	global_load_dword v49, v4, s[0:1]
	global_load_dword v48, v4, s[0:1] offset:308
	global_load_dword v47, v4, s[0:1] offset:616
	;; [unrolled: 1-line block ×6, first 2 shown]
	s_clause 0x1
	global_load_dword v9, v[0:1], off
	global_load_dword v10, v[2:3], off
	v_add_co_u32 v0, vcc_lo, v2, s8
	v_add_co_ci_u32_e32 v1, vcc_lo, s7, v3, vcc_lo
	v_add_co_u32 v17, vcc_lo, 0x800, v51
	v_add_co_ci_u32_e32 v18, vcc_lo, 0, v52, vcc_lo
	global_load_dword v11, v[0:1], off
	v_add_co_u32 v0, vcc_lo, v0, s8
	v_add_co_ci_u32_e32 v1, vcc_lo, s7, v1, vcc_lo
	global_load_dword v41, v[17:18], off offset:108
	v_add_co_u32 v2, vcc_lo, v0, s8
	v_add_co_ci_u32_e32 v3, vcc_lo, s7, v1, vcc_lo
	global_load_dword v12, v[0:1], off
	v_add_co_u32 v0, vcc_lo, v2, s8
	v_add_co_ci_u32_e32 v1, vcc_lo, s7, v3, vcc_lo
	global_load_dword v13, v[2:3], off
	;; [unrolled: 3-line block ×4, first 2 shown]
	v_add_co_u32 v2, vcc_lo, v0, s8
	v_add_co_ci_u32_e32 v3, vcc_lo, s7, v1, vcc_lo
	global_load_dword v40, v[17:18], off offset:416
	global_load_dword v0, v[0:1], off
	global_load_dword v1, v[2:3], off
	s_clause 0x1
	global_load_dword v38, v[17:18], off offset:724
	global_load_dword v37, v[17:18], off offset:1032
	v_mul_hi_u32 v2, 0xaaaaaaab, v16
	s_load_dwordx4 s[8:11], s[10:11], 0x0
	v_cmp_gt_u16_e32 vcc_lo, 44, v6
	v_lshrrev_b32_e32 v2, 1, v2
	v_lshl_add_u32 v2, v2, 1, v2
	v_sub_nc_u32_e32 v2, v16, v2
	v_mul_u32_u24_e32 v2, 0x34f, v2
	v_lshlrev_b32_e32 v50, 2, v2
	v_add_nc_u32_e32 v39, v4, v50
	v_add_nc_u32_e32 v14, 0x400, v39
	;; [unrolled: 1-line block ×4, first 2 shown]
	s_waitcnt vmcnt(21)
	v_lshrrev_b32_e32 v2, 16, v5
	s_waitcnt vmcnt(20)
	v_lshrrev_b32_e32 v21, 16, v8
	s_waitcnt vmcnt(19)
	v_mul_f16_sdwa v3, v49, v5 dst_sel:DWORD dst_unused:UNUSED_PAD src0_sel:WORD_1 src1_sel:DWORD
	v_mul_f16_sdwa v4, v49, v2 dst_sel:DWORD dst_unused:UNUSED_PAD src0_sel:WORD_1 src1_sel:DWORD
	s_waitcnt vmcnt(18)
	v_mul_f16_sdwa v22, v48, v8 dst_sel:DWORD dst_unused:UNUSED_PAD src0_sel:WORD_1 src1_sel:DWORD
	v_fma_f16 v2, v49, v2, -v3
	v_fmac_f16_e32 v4, v49, v5
	v_mul_f16_sdwa v3, v48, v21 dst_sel:DWORD dst_unused:UNUSED_PAD src0_sel:WORD_1 src1_sel:DWORD
	s_waitcnt vmcnt(12)
	v_lshrrev_b32_e32 v5, 16, v9
	v_fma_f16 v21, v48, v21, -v22
	v_mul_f16_sdwa v22, v47, v9 dst_sel:DWORD dst_unused:UNUSED_PAD src0_sel:WORD_1 src1_sel:DWORD
	v_pack_b32_f16 v2, v4, v2
	v_fmac_f16_e32 v3, v48, v8
	v_mul_f16_sdwa v4, v47, v5 dst_sel:DWORD dst_unused:UNUSED_PAD src0_sel:WORD_1 src1_sel:DWORD
	s_waitcnt vmcnt(11)
	v_lshrrev_b32_e32 v8, 16, v10
	v_mul_f16_sdwa v23, v45, v10 dst_sel:DWORD dst_unused:UNUSED_PAD src0_sel:WORD_1 src1_sel:DWORD
	v_fma_f16 v5, v47, v5, -v22
	v_pack_b32_f16 v3, v3, v21
	v_fmac_f16_e32 v4, v47, v9
	v_mul_f16_sdwa v9, v45, v8 dst_sel:DWORD dst_unused:UNUSED_PAD src0_sel:WORD_1 src1_sel:DWORD
	s_waitcnt vmcnt(10)
	v_lshrrev_b32_e32 v21, 16, v11
	v_fma_f16 v8, v45, v8, -v23
	v_mul_f16_sdwa v22, v44, v11 dst_sel:DWORD dst_unused:UNUSED_PAD src0_sel:WORD_1 src1_sel:DWORD
	ds_write2_b32 v39, v2, v3 offset1:77
	v_pack_b32_f16 v2, v4, v5
	v_fmac_f16_e32 v9, v45, v10
	v_mul_f16_sdwa v3, v44, v21 dst_sel:DWORD dst_unused:UNUSED_PAD src0_sel:WORD_1 src1_sel:DWORD
	s_waitcnt vmcnt(8)
	v_lshrrev_b32_e32 v4, 16, v12
	v_mul_f16_sdwa v5, v43, v12 dst_sel:DWORD dst_unused:UNUSED_PAD src0_sel:WORD_1 src1_sel:DWORD
	v_fma_f16 v10, v44, v21, -v22
	v_pack_b32_f16 v8, v9, v8
	v_fmac_f16_e32 v3, v44, v11
	v_mul_f16_sdwa v9, v43, v4 dst_sel:DWORD dst_unused:UNUSED_PAD src0_sel:WORD_1 src1_sel:DWORD
	v_fma_f16 v4, v43, v4, -v5
	s_waitcnt vmcnt(7)
	v_lshrrev_b32_e32 v5, 16, v13
	v_mul_f16_sdwa v11, v42, v13 dst_sel:DWORD dst_unused:UNUSED_PAD src0_sel:WORD_1 src1_sel:DWORD
	v_pack_b32_f16 v3, v3, v10
	v_fmac_f16_e32 v9, v43, v12
	s_waitcnt vmcnt(6)
	v_lshrrev_b32_e32 v10, 16, v19
	v_mul_f16_sdwa v12, v42, v5 dst_sel:DWORD dst_unused:UNUSED_PAD src0_sel:WORD_1 src1_sel:DWORD
	v_fma_f16 v5, v42, v5, -v11
	v_mul_f16_sdwa v11, v41, v19 dst_sel:DWORD dst_unused:UNUSED_PAD src0_sel:WORD_1 src1_sel:DWORD
	v_pack_b32_f16 v4, v9, v4
	v_mul_f16_sdwa v9, v41, v10 dst_sel:DWORD dst_unused:UNUSED_PAD src0_sel:WORD_1 src1_sel:DWORD
	v_fmac_f16_e32 v12, v42, v13
	s_waitcnt vmcnt(5)
	v_lshrrev_b32_e32 v13, 16, v20
	v_fma_f16 v10, v41, v10, -v11
	s_waitcnt vmcnt(4)
	v_mul_f16_sdwa v11, v40, v20 dst_sel:DWORD dst_unused:UNUSED_PAD src0_sel:WORD_1 src1_sel:DWORD
	v_fmac_f16_e32 v9, v41, v19
	s_waitcnt vmcnt(3)
	v_lshrrev_b32_e32 v19, 16, v0
	s_waitcnt vmcnt(2)
	v_lshrrev_b32_e32 v22, 16, v1
	v_mul_f16_sdwa v21, v40, v13 dst_sel:DWORD dst_unused:UNUSED_PAD src0_sel:WORD_1 src1_sel:DWORD
	v_fma_f16 v11, v40, v13, -v11
	s_waitcnt vmcnt(1)
	v_mul_f16_sdwa v13, v38, v0 dst_sel:DWORD dst_unused:UNUSED_PAD src0_sel:WORD_1 src1_sel:DWORD
	v_mul_f16_sdwa v23, v38, v19 dst_sel:DWORD dst_unused:UNUSED_PAD src0_sel:WORD_1 src1_sel:DWORD
	s_waitcnt vmcnt(0)
	v_mul_f16_sdwa v24, v37, v1 dst_sel:DWORD dst_unused:UNUSED_PAD src0_sel:WORD_1 src1_sel:DWORD
	v_mul_f16_sdwa v25, v37, v22 dst_sel:DWORD dst_unused:UNUSED_PAD src0_sel:WORD_1 src1_sel:DWORD
	v_fmac_f16_e32 v21, v40, v20
	v_fma_f16 v13, v38, v19, -v13
	v_fmac_f16_e32 v23, v38, v0
	v_fma_f16 v0, v37, v22, -v24
	v_fmac_f16_e32 v25, v37, v1
	v_pack_b32_f16 v1, v12, v5
	v_pack_b32_f16 v5, v9, v10
	;; [unrolled: 1-line block ×5, first 2 shown]
	ds_write2_b32 v39, v2, v8 offset0:154 offset1:231
	ds_write2_b32 v14, v3, v4 offset0:52 offset1:129
	;; [unrolled: 1-line block ×4, first 2 shown]
	ds_write_b32 v39, v0 offset:3080
	v_mul_lo_u16 v8, v6, 11
	s_waitcnt lgkmcnt(0)
	s_barrier
	buffer_gl0_inv
	ds_read2_b32 v[2:3], v39 offset1:77
	ds_read_b32 v10, v39 offset:3080
	ds_read2_b32 v[4:5], v14 offset0:52 offset1:129
	ds_read2_b32 v[0:1], v15 offset0:78 offset1:155
	v_and_b32_e32 v11, 0xffff, v8
	ds_read2_b32 v[8:9], v39 offset0:154 offset1:231
	ds_read2_b32 v[19:20], v7 offset0:104 offset1:181
	v_add_nc_u32_e32 v21, 0x200, v39
	s_waitcnt lgkmcnt(0)
	s_barrier
	v_lshl_add_u32 v53, v11, 2, v50
	buffer_gl0_inv
	v_add_f16_e32 v31, v3, v2
	v_add_f16_e32 v11, v10, v3
	v_add_f16_sdwa v12, v10, v3 dst_sel:DWORD dst_unused:UNUSED_PAD src0_sel:WORD_1 src1_sel:WORD_1
	v_sub_f16_e32 v13, v3, v10
	v_sub_f16_sdwa v22, v3, v10 dst_sel:DWORD dst_unused:UNUSED_PAD src0_sel:WORD_1 src1_sel:WORD_1
	v_add_f16_sdwa v3, v3, v2 dst_sel:DWORD dst_unused:UNUSED_PAD src0_sel:WORD_1 src1_sel:WORD_1
	v_add_f16_e32 v23, v1, v4
	v_sub_f16_e32 v25, v4, v1
	v_sub_f16_sdwa v26, v4, v1 dst_sel:DWORD dst_unused:UNUSED_PAD src0_sel:WORD_1 src1_sel:WORD_1
	v_add_f16_e32 v27, v0, v5
	v_sub_f16_e32 v29, v5, v0
	v_sub_f16_sdwa v30, v5, v0 dst_sel:DWORD dst_unused:UNUSED_PAD src0_sel:WORD_1 src1_sel:WORD_1
	v_sub_f16_sdwa v32, v8, v20 dst_sel:DWORD dst_unused:UNUSED_PAD src0_sel:WORD_1 src1_sel:WORD_1
	v_add_f16_e32 v33, v20, v8
	v_sub_f16_sdwa v34, v9, v19 dst_sel:DWORD dst_unused:UNUSED_PAD src0_sel:WORD_1 src1_sel:WORD_1
	v_add_f16_e32 v35, v19, v9
	v_sub_f16_e32 v54, v8, v20
	v_sub_f16_e32 v56, v9, v19
	v_mul_f16_e32 v58, 0xb853, v13
	v_mul_f16_e32 v60, 0xbb47, v13
	;; [unrolled: 1-line block ×4, first 2 shown]
	v_add_f16_e32 v31, v31, v8
	v_add_f16_sdwa v3, v3, v8 dst_sel:DWORD dst_unused:UNUSED_PAD src0_sel:DWORD src1_sel:WORD_1
	v_pack_b32_f16 v13, v13, v11
	v_mul_f16_e32 v57, 0xb853, v22
	v_mul_f16_e32 v59, 0xbb47, v22
	v_add_f16_sdwa v24, v1, v4 dst_sel:DWORD dst_unused:UNUSED_PAD src0_sel:WORD_1 src1_sel:WORD_1
	v_add_f16_sdwa v28, v0, v5 dst_sel:DWORD dst_unused:UNUSED_PAD src0_sel:WORD_1 src1_sel:WORD_1
	;; [unrolled: 1-line block ×4, first 2 shown]
	v_mul_f16_e32 v61, 0xbbeb, v22
	v_mul_f16_e32 v63, 0xba0c, v22
	v_pack_b32_f16 v8, v12, v22
	v_mul_f16_e32 v22, 0xbb47, v32
	v_mul_f16_e32 v65, 0xba0c, v32
	v_mul_f16_e32 v66, 0xbbeb, v34
	v_mul_f16_e32 v67, 0x3482, v34
	v_mul_f16_e32 v68, 0xba0c, v26
	v_mul_f16_e32 v69, 0x3beb, v26
	v_mul_f16_e32 v70, 0xb482, v30
	v_mul_f16_e32 v71, 0x3853, v30
	v_mul_f16_e32 v72, 0x3482, v32
	v_mul_f16_e32 v73, 0x3beb, v32
	v_pack_b32_f16 v74, v54, v33
	v_mul_f16_e32 v75, 0xbb47, v54
	v_mul_f16_e32 v76, 0xba0c, v54
	v_mul_f16_e32 v77, 0x3482, v54
	v_mul_f16_e32 v54, 0x3beb, v54
	v_mul_f16_e32 v78, 0x3b47, v34
	v_mul_f16_e32 v79, 0xb853, v34
	v_pack_b32_f16 v80, v56, v35
	v_mul_f16_e32 v81, 0xbbeb, v56
	v_mul_f16_e32 v82, 0x3482, v56
	v_mul_f16_e32 v83, 0x3b47, v56
	v_mul_f16_e32 v56, 0xb853, v56
	v_mul_f16_e32 v84, 0xb853, v26
	v_mul_f16_e32 v85, 0xb482, v26
	;; [unrolled: 7-line block ×3, first 2 shown]
	v_pack_b32_f16 v92, v29, v27
	v_mul_f16_e32 v93, 0xb482, v29
	v_mul_f16_e32 v94, 0x3853, v29
	;; [unrolled: 1-line block ×4, first 2 shown]
	v_add_f16_e32 v31, v31, v9
	v_add_f16_sdwa v3, v3, v9 dst_sel:DWORD dst_unused:UNUSED_PAD src0_sel:DWORD src1_sel:WORD_1
	v_pk_mul_f16 v13, 0xbbadb482, v13
	v_fma_f16 v96, v11, 0x3abb, -v57
	v_fmamk_f16 v97, v12, 0x3abb, v58
	v_fmac_f16_e32 v57, 0x3abb, v11
	v_fma_f16 v9, v12, 0x3abb, -v58
	v_fma_f16 v58, v11, 0x36a6, -v59
	v_fmac_f16_e32 v59, 0x36a6, v11
	v_pack_b32_f16 v32, v36, v32
	v_pack_b32_f16 v34, v55, v34
	;; [unrolled: 1-line block ×4, first 2 shown]
	v_fmamk_f16 v98, v12, 0x36a6, v60
	v_fma_f16 v60, v12, 0x36a6, -v60
	v_fma_f16 v99, v11, 0xb08e, -v61
	v_fmamk_f16 v100, v12, 0xb08e, v62
	v_fmac_f16_e32 v61, 0xb08e, v11
	v_fma_f16 v62, v12, 0xb08e, -v62
	v_fma_f16 v101, v11, 0xb93d, -v63
	v_fmac_f16_e32 v63, 0xb93d, v11
	v_fmamk_f16 v11, v12, 0xb93d, v64
	v_fma_f16 v12, v12, 0xb93d, -v64
	v_fma_f16 v64, v33, 0x36a6, -v22
	v_fmac_f16_e32 v22, 0x36a6, v33
	v_fma_f16 v102, v33, 0xb93d, -v65
	v_fmac_f16_e32 v65, 0xb93d, v33
	;; [unrolled: 2-line block ×10, first 2 shown]
	v_fmamk_f16 v33, v36, 0x36a6, v75
	v_fma_f16 v75, v36, 0x36a6, -v75
	v_fmamk_f16 v111, v36, 0xb93d, v76
	v_fma_f16 v76, v36, 0xb93d, -v76
	v_fmamk_f16 v112, v36, 0xbbad, v77
	v_fma_f16 v77, v36, 0xbbad, -v77
	v_fmamk_f16 v113, v36, 0xb08e, v54
	v_fma_f16 v36, v36, 0xb08e, -v54
	v_fma_f16 v54, v35, 0x36a6, -v78
	v_fmac_f16_e32 v78, 0x36a6, v35
	v_fma_f16 v114, v35, 0x3abb, -v79
	v_fmac_f16_e32 v79, 0x3abb, v35
	v_fmamk_f16 v35, v55, 0xb08e, v81
	v_fma_f16 v81, v55, 0xb08e, -v81
	v_fmamk_f16 v115, v55, 0xbbad, v82
	v_fma_f16 v82, v55, 0xbbad, -v82
	v_fmamk_f16 v116, v55, 0x36a6, v83
	v_fma_f16 v83, v55, 0x36a6, -v83
	v_fmamk_f16 v117, v55, 0x3abb, v56
	v_fma_f16 v55, v55, 0x3abb, -v56
	v_fma_f16 v56, v23, 0x3abb, -v84
	v_fmac_f16_e32 v84, 0x3abb, v23
	v_fma_f16 v118, v23, 0xbbad, -v85
	v_fmac_f16_e32 v85, 0xbbad, v23
	;; [unrolled: 12-line block ×3, first 2 shown]
	v_fmamk_f16 v27, v28, 0xbbad, v93
	v_fma_f16 v93, v28, 0xbbad, -v93
	v_fmamk_f16 v123, v28, 0x3abb, v94
	v_fma_f16 v94, v28, 0x3abb, -v94
	;; [unrolled: 2-line block ×4, first 2 shown]
	v_pk_mul_f16 v28, 0x3abb3853, v74
	v_pk_mul_f16 v29, 0xb93dba0c, v80
	;; [unrolled: 1-line block ×4, first 2 shown]
	v_add_f16_e32 v31, v31, v4
	v_add_f16_sdwa v3, v3, v4 dst_sel:DWORD dst_unused:UNUSED_PAD src0_sel:DWORD src1_sel:WORD_1
	v_pk_fma_f16 v4, 0xb482bbad, v8, v13 neg_lo:[0,1,0] neg_hi:[0,1,0]
	v_pk_fma_f16 v86, 0xb482bbad, v8, v13
	v_pk_fma_f16 v8, 0xb482bbad, v8, v13 neg_lo:[0,0,1] neg_hi:[0,0,1]
	v_add_f16_e32 v57, v57, v2
	v_add_f16_e32 v59, v59, v2
	;; [unrolled: 1-line block ×3, first 2 shown]
	v_add_f16_sdwa v92, v97, v2 dst_sel:DWORD dst_unused:UNUSED_PAD src0_sel:DWORD src1_sel:WORD_1
	v_add_f16_sdwa v9, v9, v2 dst_sel:DWORD dst_unused:UNUSED_PAD src0_sel:DWORD src1_sel:WORD_1
	v_add_f16_e32 v58, v58, v2
	v_add_f16_sdwa v96, v98, v2 dst_sel:DWORD dst_unused:UNUSED_PAD src0_sel:DWORD src1_sel:WORD_1
	v_add_f16_sdwa v60, v60, v2 dst_sel:DWORD dst_unused:UNUSED_PAD src0_sel:DWORD src1_sel:WORD_1
	v_add_f16_e32 v97, v99, v2
	v_add_f16_sdwa v98, v100, v2 dst_sel:DWORD dst_unused:UNUSED_PAD src0_sel:DWORD src1_sel:WORD_1
	v_add_f16_e32 v61, v61, v2
	;; [unrolled: 2-line block ×4, first 2 shown]
	v_add_f16_sdwa v12, v12, v2 dst_sel:DWORD dst_unused:UNUSED_PAD src0_sel:DWORD src1_sel:WORD_1
	v_pk_fma_f16 v100, 0x38533abb, v32, v28 neg_lo:[0,1,0] neg_hi:[0,1,0]
	v_pk_fma_f16 v101, 0x38533abb, v32, v28
	v_pk_fma_f16 v28, 0x38533abb, v32, v28 neg_lo:[0,0,1] neg_hi:[0,0,1]
	v_pk_fma_f16 v32, 0xba0cb93d, v34, v29 neg_lo:[0,1,0] neg_hi:[0,1,0]
	v_pk_fma_f16 v127, 0xba0cb93d, v34, v29
	v_pk_fma_f16 v29, 0xba0cb93d, v34, v29 neg_lo:[0,0,1] neg_hi:[0,0,1]
	;; [unrolled: 3-line block ×4, first 2 shown]
	v_add_f16_e32 v30, v31, v5
	v_add_f16_sdwa v3, v3, v5 dst_sel:DWORD dst_unused:UNUSED_PAD src0_sel:DWORD src1_sel:WORD_1
	v_pk_add_f16 v4, v4, v2 op_sel:[0,1] op_sel_hi:[1,0]
	v_pk_add_f16 v5, v86, v2 op_sel:[0,1] op_sel_hi:[1,0]
	;; [unrolled: 1-line block ×3, first 2 shown]
	v_add_f16_e32 v8, v22, v57
	v_add_f16_e32 v22, v65, v59
	;; [unrolled: 1-line block ×5, first 2 shown]
	v_add_f16_sdwa v0, v3, v0 dst_sel:DWORD dst_unused:UNUSED_PAD src0_sel:DWORD src1_sel:WORD_1
	v_pk_add_f16 v2, v28, v2
	v_add_f16_e32 v13, v64, v13
	v_add_f16_e32 v33, v102, v58
	;; [unrolled: 1-line block ×14, first 2 shown]
	v_pk_add_f16 v4, v100, v4
	v_pk_add_f16 v5, v101, v5
	v_add_f16_e32 v22, v35, v31
	v_add_f16_e32 v12, v55, v12
	;; [unrolled: 1-line block ×3, first 2 shown]
	v_add_f16_sdwa v0, v0, v1 dst_sel:DWORD dst_unused:UNUSED_PAD src0_sel:DWORD src1_sel:WORD_1
	v_pk_add_f16 v2, v29, v2
	v_add_f16_e32 v13, v103, v13
	v_add_f16_e32 v28, v104, v33
	;; [unrolled: 1-line block ×14, first 2 shown]
	v_pk_add_f16 v4, v32, v4
	v_pk_add_f16 v5, v127, v5
	v_add_f16_e32 v22, v23, v22
	v_add_f16_e32 v24, v24, v12
	v_pk_add_f16 v2, v26, v2
	v_add_f16_e32 v26, v30, v19
	v_add_f16_sdwa v0, v0, v19 dst_sel:DWORD dst_unused:UNUSED_PAD src0_sel:DWORD src1_sel:WORD_1
	v_add_f16_e32 v8, v105, v13
	v_add_f16_e32 v23, v106, v28
	v_add_f16_e32 v29, v119, v31
	v_add_f16_e32 v31, v88, v33
	v_add_f16_e32 v32, v56, v35
	v_add_f16_e32 v33, v120, v36
	v_add_f16_e32 v35, v84, v54
	v_add_f16_e32 v54, v118, v58
	v_add_f16_e32 v11, v121, v11
	v_add_f16_e32 v9, v87, v9
	v_add_f16_e32 v36, v89, v57
	v_add_f16_e32 v55, v85, v59
	v_add_f16_e32 v13, v70, v1
	v_add_f16_e32 v12, v71, v3
	v_pk_add_f16 v1, v34, v4
	v_pk_add_f16 v3, v128, v5
	v_add_f16_e32 v5, v27, v22
	v_add_f16_e32 v27, v126, v24
	;; [unrolled: 1-line block ×3, first 2 shown]
	v_add_f16_sdwa v0, v0, v20 dst_sel:DWORD dst_unused:UNUSED_PAD src0_sel:DWORD src1_sel:WORD_1
	v_add_f16_e32 v4, v107, v8
	v_add_f16_e32 v22, v108, v23
	;; [unrolled: 1-line block ×12, first 2 shown]
	v_pk_add_f16 v1, v74, v1
	v_pk_add_f16 v3, v129, v3
	;; [unrolled: 1-line block ×3, first 2 shown]
	v_add_f16_e32 v24, v24, v10
	v_add_f16_sdwa v0, v0, v10 dst_sel:WORD_1 dst_unused:UNUSED_PAD src0_sel:DWORD src1_sel:WORD_1
	v_pack_b32_f16 v20, v22, v23
	v_pack_b32_f16 v4, v4, v5
	;; [unrolled: 1-line block ×8, first 2 shown]
	v_alignbit_b32 v2, v2, v3, 16
	v_alignbit_b32 v1, v3, v1, 16
	v_or_b32_sdwa v0, v0, v24 dst_sel:DWORD dst_unused:UNUSED_PAD src0_sel:DWORD src1_sel:WORD_0
	ds_write2_b32 v53, v4, v20 offset0:1 offset1:2
	ds_write2_b32 v53, v11, v5 offset0:3 offset1:4
	;; [unrolled: 1-line block ×5, first 2 shown]
	ds_write_b32 v53, v0
	s_waitcnt lgkmcnt(0)
	s_barrier
	buffer_gl0_inv
	ds_read2_b32 v[10:11], v39 offset1:121
	ds_read2_b32 v[25:26], v21 offset0:114 offset1:235
	ds_read2_b32 v[23:24], v15 offset0:100 offset1:221
	ds_read_b32 v31, v39 offset:2904
                                        ; implicit-def: $vgpr15
                                        ; implicit-def: $vgpr33
                                        ; implicit-def: $vgpr32
                                        ; implicit-def: $vgpr34
                                        ; implicit-def: $vgpr35
	s_and_saveexec_b32 s0, vcc_lo
	s_cbranch_execz .LBB0_3
; %bb.2:
	ds_read2_b32 v[8:9], v39 offset0:77 offset1:198
	ds_read2_b32 v[12:13], v14 offset0:63 offset1:184
	;; [unrolled: 1-line block ×3, first 2 shown]
	ds_read_b32 v32, v39 offset:3212
	s_waitcnt lgkmcnt(3)
	v_lshrrev_b32_e32 v27, 16, v8
	v_lshrrev_b32_e32 v30, 16, v9
	s_waitcnt lgkmcnt(2)
	v_lshrrev_b32_e32 v29, 16, v12
	v_lshrrev_b32_e32 v28, 16, v13
	;; [unrolled: 3-line block ×3, first 2 shown]
	s_waitcnt lgkmcnt(0)
	v_lshrrev_b32_e32 v34, 16, v32
.LBB0_3:
	s_or_b32 exec_lo, exec_lo, s0
	v_and_b32_e32 v0, 0xff, v46
	v_add_nc_u16 v2, v46, 0x4d
	v_mov_b32_e32 v19, 6
	v_mov_b32_e32 v36, 0x4d
	s_waitcnt lgkmcnt(1)
	v_lshrrev_b32_e32 v60, 16, v23
	v_mul_lo_u16 v0, 0x75, v0
	v_and_b32_e32 v3, 0xff, v2
	v_lshrrev_b32_e32 v58, 16, v11
	v_lshrrev_b32_e32 v59, 16, v25
	;; [unrolled: 1-line block ×3, first 2 shown]
	v_lshrrev_b16 v0, 8, v0
	v_mul_lo_u16 v3, 0x75, v3
	s_waitcnt lgkmcnt(0)
	v_lshrrev_b32_e32 v62, 16, v31
	v_sub_nc_u16 v1, v46, v0
	v_lshrrev_b16 v1, 1, v1
	v_and_b32_e32 v1, 0x7f, v1
	v_add_nc_u16 v0, v1, v0
	v_lshrrev_b16 v1, 8, v3
	v_lshrrev_b16 v56, 3, v0
	v_sub_nc_u16 v0, v2, v1
	v_mul_lo_u16 v3, v56, 11
	v_lshrrev_b16 v0, 1, v0
	v_mul_u32_u24_sdwa v56, v56, v36 dst_sel:DWORD dst_unused:UNUSED_PAD src0_sel:WORD_0 src1_sel:DWORD
	v_sub_nc_u16 v57, v46, v3
	v_and_b32_e32 v0, 0x7f, v0
	v_mul_u32_u24_sdwa v3, v57, v19 dst_sel:DWORD dst_unused:UNUSED_PAD src0_sel:BYTE_0 src1_sel:DWORD
	v_add_nc_u16 v0, v0, v1
	v_add_nc_u32_sdwa v56, v56, v57 dst_sel:DWORD dst_unused:UNUSED_PAD src0_sel:DWORD src1_sel:BYTE_0
	v_lshrrev_b32_e32 v57, 16, v26
	v_lshlrev_b32_e32 v1, 2, v3
	v_lshrrev_b16 v55, 3, v0
	v_lshl_add_u32 v56, v56, 2, v50
	s_clause 0x1
	global_load_dwordx4 v[4:7], v1, s[2:3]
	global_load_dwordx2 v[21:22], v1, s[2:3] offset:16
	v_mul_lo_u16 v0, v55, 11
	v_sub_nc_u16 v54, v2, v0
	v_mul_u32_u24_sdwa v0, v54, v19 dst_sel:DWORD dst_unused:UNUSED_PAD src0_sel:BYTE_0 src1_sel:DWORD
	v_lshlrev_b32_e32 v19, 2, v0
	s_clause 0x1
	global_load_dwordx4 v[0:3], v19, s[2:3]
	global_load_dwordx2 v[19:20], v19, s[2:3] offset:16
	s_waitcnt vmcnt(0)
	s_barrier
	buffer_gl0_inv
	v_mul_f16_sdwa v64, v11, v4 dst_sel:DWORD dst_unused:UNUSED_PAD src0_sel:DWORD src1_sel:WORD_1
	v_mul_f16_sdwa v66, v25, v5 dst_sel:DWORD dst_unused:UNUSED_PAD src0_sel:DWORD src1_sel:WORD_1
	;; [unrolled: 1-line block ×12, first 2 shown]
	v_fmac_f16_e32 v64, v58, v4
	v_fmac_f16_e32 v66, v59, v5
	v_fma_f16 v23, v23, v7, -v69
	v_fmac_f16_e32 v72, v61, v21
	v_fmac_f16_e32 v74, v62, v22
	v_fma_f16 v11, v11, v4, -v63
	v_fma_f16 v25, v25, v5, -v65
	;; [unrolled: 1-line block ×3, first 2 shown]
	v_fmac_f16_e32 v68, v57, v6
	v_mul_f16_sdwa v58, v9, v0 dst_sel:DWORD dst_unused:UNUSED_PAD src0_sel:DWORD src1_sel:WORD_1
	v_mul_f16_sdwa v69, v15, v19 dst_sel:DWORD dst_unused:UNUSED_PAD src0_sel:DWORD src1_sel:WORD_1
	v_fmac_f16_e32 v70, v60, v7
	v_fma_f16 v24, v24, v21, -v71
	v_fma_f16 v31, v31, v22, -v73
	v_mul_f16_sdwa v57, v30, v0 dst_sel:DWORD dst_unused:UNUSED_PAD src0_sel:DWORD src1_sel:WORD_1
	v_mul_f16_sdwa v59, v29, v1 dst_sel:DWORD dst_unused:UNUSED_PAD src0_sel:DWORD src1_sel:WORD_1
	;; [unrolled: 1-line block ×10, first 2 shown]
	v_fmac_f16_e32 v58, v30, v0
	v_fmac_f16_e32 v69, v33, v19
	v_add_f16_e32 v30, v64, v74
	v_add_f16_e32 v33, v66, v72
	v_fma_f16 v9, v9, v0, -v57
	v_fma_f16 v12, v12, v1, -v59
	v_fmac_f16_e32 v60, v29, v1
	v_fma_f16 v13, v13, v2, -v61
	v_fmac_f16_e32 v62, v28, v2
	;; [unrolled: 2-line block ×3, first 2 shown]
	v_fma_f16 v15, v15, v19, -v67
	v_fma_f16 v28, v32, v20, -v71
	v_fmac_f16_e32 v73, v34, v20
	v_add_f16_e32 v29, v11, v31
	v_sub_f16_e32 v11, v11, v31
	v_add_f16_e32 v32, v25, v24
	v_sub_f16_e32 v24, v25, v24
	v_sub_f16_e32 v25, v66, v72
	v_add_f16_e32 v34, v26, v23
	v_add_f16_e32 v35, v68, v70
	v_sub_f16_e32 v23, v23, v26
	v_sub_f16_e32 v26, v70, v68
	v_add_f16_e32 v59, v33, v30
	v_sub_f16_e32 v31, v64, v74
	v_add_f16_e32 v57, v32, v29
	v_sub_f16_e32 v61, v32, v29
	v_sub_f16_e32 v63, v33, v30
	;; [unrolled: 1-line block ×6, first 2 shown]
	v_add_f16_e32 v64, v23, v24
	v_sub_f16_e32 v67, v23, v24
	v_sub_f16_e32 v68, v26, v25
	;; [unrolled: 1-line block ×3, first 2 shown]
	v_add_f16_e32 v70, v9, v28
	v_add_f16_e32 v71, v58, v73
	v_sub_f16_e32 v9, v9, v28
	v_sub_f16_e32 v28, v58, v73
	v_add_f16_e32 v58, v12, v15
	v_add_f16_e32 v72, v60, v69
	v_sub_f16_e32 v12, v12, v15
	v_sub_f16_e32 v15, v60, v69
	v_add_f16_e32 v60, v13, v14
	v_add_f16_e32 v69, v62, v65
	v_sub_f16_e32 v13, v14, v13
	v_add_f16_e32 v35, v35, v59
	v_add_f16_e32 v66, v26, v25
	v_sub_f16_e32 v23, v11, v23
	v_sub_f16_e32 v25, v25, v31
	;; [unrolled: 1-line block ×3, first 2 shown]
	v_add_f16_e32 v34, v34, v57
	v_add_f16_e32 v11, v64, v11
	v_mul_f16_e32 v29, 0x3a52, v29
	v_mul_f16_e32 v57, 0x2b26, v32
	;; [unrolled: 1-line block ×5, first 2 shown]
	v_add_f16_e32 v67, v58, v70
	v_add_f16_e32 v68, v72, v71
	v_sub_f16_e32 v74, v72, v71
	v_sub_f16_e32 v71, v71, v69
	;; [unrolled: 1-line block ×3, first 2 shown]
	v_add_f16_sdwa v81, v35, v10 dst_sel:DWORD dst_unused:UNUSED_PAD src0_sel:DWORD src1_sel:WORD_1
	v_sub_f16_e32 v26, v31, v26
	v_add_f16_e32 v31, v66, v31
	v_mul_f16_e32 v30, 0x3a52, v30
	v_mul_f16_e32 v59, 0x2b26, v33
	;; [unrolled: 1-line block ×3, first 2 shown]
	v_sub_f16_e32 v73, v58, v70
	v_sub_f16_e32 v70, v70, v60
	;; [unrolled: 1-line block ×4, first 2 shown]
	v_add_f16_e32 v75, v13, v12
	v_add_f16_e32 v76, v14, v15
	v_sub_f16_e32 v78, v14, v15
	v_sub_f16_e32 v13, v9, v13
	;; [unrolled: 1-line block ×5, first 2 shown]
	v_add_f16_e32 v80, v34, v10
	v_fmamk_f16 v32, v32, 0x2b26, v29
	v_fma_f16 v57, v61, 0x39e0, -v57
	v_fma_f16 v29, v61, 0xb9e0, -v29
	v_fmamk_f16 v61, v23, 0x3574, v62
	v_fma_f16 v24, v24, 0x3b00, -v62
	v_fma_f16 v23, v23, 0xb574, -v65
	v_add_f16_e32 v60, v60, v67
	v_add_f16_e32 v62, v69, v68
	v_mul_f16_e32 v12, 0x3a52, v71
	v_mul_f16_e32 v67, 0xb846, v77
	v_lshlrev_b32_e32 v71, 16, v81
	v_fmamk_f16 v33, v33, 0x2b26, v30
	v_fma_f16 v59, v63, 0x39e0, -v59
	v_fma_f16 v30, v63, 0xb9e0, -v30
	v_fmamk_f16 v63, v26, 0x3574, v64
	v_fma_f16 v25, v25, 0x3b00, -v64
	v_fma_f16 v26, v26, 0xb574, -v66
	v_add_f16_e32 v64, v75, v9
	v_mul_f16_e32 v10, 0x3a52, v70
	v_mul_f16_e32 v65, 0x2b26, v58
	;; [unrolled: 1-line block ×6, first 2 shown]
	v_fmac_f16_e32 v81, 0xbcab, v35
	v_fmac_f16_e32 v61, 0x370e, v11
	;; [unrolled: 1-line block ×4, first 2 shown]
	v_add_f16_e32 v8, v8, v60
	v_add_f16_e32 v9, v27, v62
	v_fmamk_f16 v11, v13, 0x3574, v67
	v_fma_f16 v14, v14, 0x3b00, -v67
	v_or_b32_sdwa v67, v71, v80 dst_sel:DWORD dst_unused:UNUSED_PAD src0_sel:DWORD src1_sel:WORD_0
	v_fmac_f16_e32 v80, 0xbcab, v34
	v_add_f16_e32 v28, v76, v28
	v_fmac_f16_e32 v63, 0x370e, v31
	v_fmac_f16_e32 v25, 0x370e, v31
	v_fmac_f16_e32 v26, 0x370e, v31
	v_fmamk_f16 v27, v58, 0x2b26, v10
	v_fmamk_f16 v31, v72, 0x2b26, v12
	v_fma_f16 v35, v73, 0x39e0, -v65
	v_fma_f16 v58, v74, 0x39e0, -v66
	v_fma_f16 v65, v73, 0xb9e0, -v10
	v_fma_f16 v66, v74, 0xb9e0, -v12
	v_fmamk_f16 v12, v79, 0x3574, v68
	v_fma_f16 v10, v15, 0x3b00, -v68
	v_fma_f16 v15, v13, 0xb574, -v69
	;; [unrolled: 1-line block ×3, first 2 shown]
	v_add_f16_e32 v33, v33, v81
	v_add_f16_e32 v34, v59, v81
	;; [unrolled: 1-line block ×3, first 2 shown]
	v_fmamk_f16 v59, v60, 0xbcab, v8
	v_fmamk_f16 v60, v62, 0xbcab, v9
	v_add_f16_e32 v32, v32, v80
	v_add_f16_e32 v57, v57, v80
	;; [unrolled: 1-line block ×3, first 2 shown]
	v_fmac_f16_e32 v11, 0x370e, v64
	v_fmac_f16_e32 v12, 0x370e, v28
	;; [unrolled: 1-line block ×6, first 2 shown]
	v_sub_f16_e32 v64, v33, v61
	v_sub_f16_e32 v68, v30, v23
	v_add_f16_e32 v69, v24, v34
	v_sub_f16_e32 v34, v34, v24
	v_add_f16_e32 v70, v23, v30
	v_add_f16_e32 v24, v27, v59
	;; [unrolled: 1-line block ×8, first 2 shown]
	v_sub_f16_e32 v60, v57, v25
	v_add_f16_e32 v35, v26, v62
	v_add_f16_e32 v33, v61, v33
	;; [unrolled: 1-line block ×3, first 2 shown]
	v_sub_f16_e32 v62, v62, v26
	v_sub_f16_e32 v32, v32, v63
	v_add_f16_e32 v25, v10, v23
	v_sub_f16_e32 v57, v29, v14
	v_sub_f16_e32 v26, v28, v13
	v_add_f16_e32 v58, v15, v30
	v_sub_f16_e32 v59, v24, v12
	v_pack_b32_f16 v31, v31, v64
	v_pack_b32_f16 v63, v60, v69
	v_add_f16_e32 v60, v11, v27
	v_pack_b32_f16 v35, v35, v68
	v_pack_b32_f16 v34, v61, v34
	;; [unrolled: 1-line block ×4, first 2 shown]
	ds_write2_b32 v56, v67, v31 offset1:11
	ds_write2_b32 v56, v35, v63 offset0:22 offset1:33
	ds_write2_b32 v56, v34, v61 offset0:44 offset1:55
	ds_write_b32 v56, v32 offset:264
	s_and_saveexec_b32 s0, vcc_lo
	s_cbranch_execz .LBB0_5
; %bb.4:
	v_mul_u32_u24_sdwa v31, v55, v36 dst_sel:DWORD dst_unused:UNUSED_PAD src0_sel:WORD_0 src1_sel:DWORD
	v_sub_f16_e32 v11, v27, v11
	v_add_f16_e32 v12, v12, v24
	v_add_f16_e32 v14, v14, v29
	v_sub_f16_e32 v15, v30, v15
	v_add_nc_u32_sdwa v24, v31, v54 dst_sel:DWORD dst_unused:UNUSED_PAD src0_sel:DWORD src1_sel:BYTE_0
	v_add_f16_e32 v13, v13, v28
	v_sub_f16_e32 v10, v23, v10
	v_perm_b32 v8, v9, v8, 0x5040100
	v_pack_b32_f16 v9, v12, v11
	v_lshl_add_u32 v11, v24, 2, v50
	v_pack_b32_f16 v12, v13, v15
	v_pack_b32_f16 v10, v10, v14
	v_perm_b32 v13, v57, v25, 0x5040100
	v_perm_b32 v14, v58, v26, 0x5040100
	;; [unrolled: 1-line block ×3, first 2 shown]
	ds_write2_b32 v11, v8, v9 offset1:11
	ds_write2_b32 v11, v12, v10 offset0:22 offset1:33
	ds_write2_b32 v11, v13, v14 offset0:44 offset1:55
	ds_write_b32 v11, v15 offset:264
.LBB0_5:
	s_or_b32 exec_lo, exec_lo, s0
	v_mad_u64_u32 v[23:24], null, v46, 40, s[2:3]
	s_waitcnt lgkmcnt(0)
	s_barrier
	buffer_gl0_inv
	v_add_nc_u32_e32 v62, 0x400, v39
	v_add_nc_u32_e32 v63, 0x600, v39
	;; [unrolled: 1-line block ×3, first 2 shown]
	s_clause 0x2
	global_load_dwordx4 v[12:15], v[23:24], off offset:264
	global_load_dwordx4 v[8:11], v[23:24], off offset:280
	global_load_dwordx2 v[23:24], v[23:24], off offset:296
	ds_read2_b32 v[27:28], v39 offset1:77
	ds_read2_b32 v[33:34], v39 offset0:154 offset1:231
	ds_read_b32 v64, v39 offset:3080
	ds_read2_b32 v[35:36], v62 offset0:52 offset1:129
	ds_read2_b32 v[31:32], v63 offset0:78 offset1:155
	;; [unrolled: 1-line block ×3, first 2 shown]
	v_add_co_u32 v65, s0, 0xd3c, v51
	v_add_co_ci_u32_e64 v66, s0, 0, v52, s0
	s_waitcnt lgkmcnt(3)
	v_lshrrev_b32_e32 v70, 16, v64
	v_lshrrev_b32_e32 v67, 16, v28
	;; [unrolled: 1-line block ×3, first 2 shown]
	s_waitcnt lgkmcnt(0)
	v_lshrrev_b32_e32 v76, 16, v30
	v_lshrrev_b32_e32 v69, 16, v34
	;; [unrolled: 1-line block ×7, first 2 shown]
	s_waitcnt vmcnt(2)
	v_mul_f16_sdwa v77, v67, v12 dst_sel:DWORD dst_unused:UNUSED_PAD src0_sel:DWORD src1_sel:WORD_1
	v_mul_f16_sdwa v78, v28, v12 dst_sel:DWORD dst_unused:UNUSED_PAD src0_sel:DWORD src1_sel:WORD_1
	;; [unrolled: 1-line block ×4, first 2 shown]
	s_waitcnt vmcnt(0)
	v_mul_f16_sdwa v93, v76, v23 dst_sel:DWORD dst_unused:UNUSED_PAD src0_sel:DWORD src1_sel:WORD_1
	v_mul_f16_sdwa v95, v70, v24 dst_sel:DWORD dst_unused:UNUSED_PAD src0_sel:DWORD src1_sel:WORD_1
	;; [unrolled: 1-line block ×3, first 2 shown]
	v_fma_f16 v28, v28, v12, -v77
	v_fmac_f16_e32 v78, v67, v12
	v_mul_f16_sdwa v81, v69, v14 dst_sel:DWORD dst_unused:UNUSED_PAD src0_sel:DWORD src1_sel:WORD_1
	v_mul_f16_sdwa v82, v34, v14 dst_sel:DWORD dst_unused:UNUSED_PAD src0_sel:DWORD src1_sel:WORD_1
	;; [unrolled: 1-line block ×13, first 2 shown]
	v_fma_f16 v33, v33, v13, -v79
	v_fmac_f16_e32 v80, v68, v13
	v_fma_f16 v30, v30, v23, -v93
	v_fma_f16 v64, v64, v24, -v95
	v_fmac_f16_e32 v96, v70, v24
	v_add_f16_e32 v67, v28, v27
	v_add_f16_sdwa v68, v78, v27 dst_sel:DWORD dst_unused:UNUSED_PAD src0_sel:DWORD src1_sel:WORD_1
	v_fma_f16 v34, v34, v14, -v81
	v_fmac_f16_e32 v82, v69, v14
	v_fma_f16 v35, v35, v15, -v83
	v_fmac_f16_e32 v84, v71, v15
	;; [unrolled: 2-line block ×6, first 2 shown]
	v_fmac_f16_e32 v94, v76, v23
	v_add_f16_e32 v69, v28, v64
	v_sub_f16_e32 v28, v28, v64
	v_sub_f16_e32 v71, v78, v96
	v_add_f16_e32 v72, v33, v30
	v_sub_f16_e32 v74, v33, v30
	v_add_f16_e32 v33, v67, v33
	v_add_f16_e32 v67, v68, v80
	;; [unrolled: 1-line block ×4, first 2 shown]
	v_sub_f16_e32 v75, v80, v94
	v_add_f16_e32 v76, v34, v29
	v_sub_f16_e32 v78, v34, v29
	v_sub_f16_e32 v79, v82, v92
	;; [unrolled: 1-line block ×6, first 2 shown]
	v_mul_f16_e32 v68, 0xb853, v71
	v_mul_f16_e32 v80, 0xb853, v28
	;; [unrolled: 1-line block ×10, first 2 shown]
	v_add_f16_e32 v33, v33, v34
	v_add_f16_e32 v34, v67, v82
	;; [unrolled: 1-line block ×7, first 2 shown]
	v_mul_f16_e32 v103, 0xbb47, v75
	v_mul_f16_e32 v104, 0xbb47, v74
	v_mul_f16_e32 v105, 0xba0c, v75
	v_mul_f16_e32 v106, 0xba0c, v74
	v_mul_f16_e32 v107, 0x3482, v75
	v_mul_f16_e32 v108, 0x3482, v74
	v_mul_f16_e32 v109, 0x3beb, v75
	v_mul_f16_e32 v110, 0x3beb, v74
	v_mul_f16_e32 v75, 0x3853, v75
	v_mul_f16_e32 v74, 0x3853, v74
	v_mul_f16_e32 v111, 0xbbeb, v79
	v_mul_f16_e32 v112, 0xbbeb, v78
	v_mul_f16_e32 v113, 0x3482, v79
	v_mul_f16_e32 v114, 0x3482, v78
	v_mul_f16_e32 v115, 0x3b47, v79
	v_mul_f16_e32 v116, 0x3b47, v78
	v_mul_f16_e32 v117, 0xb853, v79
	v_mul_f16_e32 v118, 0xb853, v78
	v_mul_f16_e32 v79, 0xba0c, v79
	v_mul_f16_e32 v78, 0xba0c, v78
	v_mul_f16_e32 v119, 0xba0c, v87
	v_mul_f16_e32 v120, 0xba0c, v85
	v_mul_f16_e32 v121, 0x3beb, v87
	v_mul_f16_e32 v122, 0x3beb, v85
	v_mul_f16_e32 v123, 0xb853, v87
	v_mul_f16_e32 v124, 0xb853, v85
	v_mul_f16_e32 v125, 0xb482, v87
	v_mul_f16_e32 v126, 0xb482, v85
	v_mul_f16_e32 v87, 0x3b47, v87
	v_mul_f16_e32 v85, 0x3b47, v85
	v_mul_f16_e32 v127, 0xb482, v91
	v_mul_f16_e32 v128, 0x3853, v91
	v_mul_f16_e32 v129, 0xba0c, v91
	v_mul_f16_e32 v130, 0x3b47, v91
	v_mul_f16_e32 v91, 0xbbeb, v91
	v_mul_f16_e32 v131, 0xb482, v93
	v_mul_f16_e32 v132, 0x3853, v93
	v_mul_f16_e32 v133, 0xba0c, v93
	v_mul_f16_e32 v134, 0x3b47, v93
	v_mul_f16_e32 v93, 0xbbeb, v93
	v_fma_f16 v67, v69, 0x3abb, -v68
	v_fmamk_f16 v82, v70, 0x3abb, v80
	v_fmac_f16_e32 v68, 0x3abb, v69
	v_fma_f16 v80, v70, 0x3abb, -v80
	v_fma_f16 v135, v69, 0x36a6, -v97
	v_fmamk_f16 v136, v70, 0x36a6, v98
	v_fmac_f16_e32 v97, 0x36a6, v69
	v_fma_f16 v98, v70, 0x36a6, -v98
	;; [unrolled: 4-line block ×5, first 2 shown]
	v_add_f16_e32 v33, v33, v35
	v_add_f16_e32 v34, v34, v84
	v_fma_f16 v69, v72, 0x36a6, -v103
	v_fmamk_f16 v70, v73, 0x36a6, v104
	v_fmac_f16_e32 v103, 0x36a6, v72
	v_fma_f16 v104, v73, 0x36a6, -v104
	v_fma_f16 v143, v72, 0xb93d, -v105
	v_fmamk_f16 v144, v73, 0xb93d, v106
	v_fmac_f16_e32 v105, 0xb93d, v72
	v_fma_f16 v106, v73, 0xb93d, -v106
	;; [unrolled: 4-line block ×14, first 2 shown]
	v_fma_f16 v165, v81, 0x36a6, -v87
	v_fmac_f16_e32 v87, 0x36a6, v81
	v_fmamk_f16 v81, v83, 0x36a6, v85
	v_fma_f16 v83, v83, 0x36a6, -v85
	v_fma_f16 v85, v89, 0xbbad, -v127
	v_fmac_f16_e32 v127, 0xbbad, v89
	v_fma_f16 v166, v89, 0x3abb, -v128
	v_fmac_f16_e32 v128, 0x3abb, v89
	;; [unrolled: 2-line block ×5, first 2 shown]
	v_fmamk_f16 v89, v95, 0xbbad, v131
	v_fma_f16 v131, v95, 0xbbad, -v131
	v_fmamk_f16 v170, v95, 0x3abb, v132
	v_fma_f16 v132, v95, 0x3abb, -v132
	;; [unrolled: 2-line block ×5, first 2 shown]
	v_add_f16_e32 v67, v67, v27
	v_add_f16_sdwa v82, v82, v27 dst_sel:DWORD dst_unused:UNUSED_PAD src0_sel:DWORD src1_sel:WORD_1
	v_add_f16_e32 v68, v68, v27
	v_add_f16_sdwa v80, v80, v27 dst_sel:DWORD dst_unused:UNUSED_PAD src0_sel:DWORD src1_sel:WORD_1
	;; [unrolled: 2-line block ×10, first 2 shown]
	v_add_f16_e32 v28, v33, v36
	v_add_f16_e32 v33, v34, v86
	;; [unrolled: 1-line block ×73, first 2 shown]
	v_add_f16_sdwa v29, v29, v96 dst_sel:WORD_1 dst_unused:UNUSED_PAD src0_sel:DWORD src1_sel:DWORD
	v_add_f16_e32 v33, v127, v34
	v_add_f16_e32 v34, v131, v36
	;; [unrolled: 1-line block ×18, first 2 shown]
	v_pack_b32_f16 v30, v31, v32
	v_or_b32_sdwa v28, v29, v28 dst_sel:DWORD dst_unused:UNUSED_PAD src0_sel:DWORD src1_sel:WORD_0
	v_pack_b32_f16 v31, v36, v67
	v_pack_b32_f16 v32, v70, v72
	;; [unrolled: 1-line block ×9, first 2 shown]
	ds_write2_b32 v39, v28, v30 offset1:77
	ds_write2_b32 v39, v31, v32 offset0:154 offset1:231
	ds_write2_b32 v62, v36, v35 offset0:52 offset1:129
	;; [unrolled: 1-line block ×4, first 2 shown]
	ds_write_b32 v39, v33 offset:3080
	s_waitcnt lgkmcnt(0)
	s_barrier
	buffer_gl0_inv
	s_clause 0x2
	global_load_dword v35, v[17:18], off offset:1340
	global_load_dword v36, v[65:66], off offset:308
	;; [unrolled: 1-line block ×3, first 2 shown]
	v_add_co_u32 v17, s0, 0x1000, v51
	v_add_co_ci_u32_e64 v18, s0, 0, v52, s0
	v_add_co_u32 v27, s0, 0x1800, v51
	v_add_co_ci_u32_e64 v28, s0, 0, v52, s0
	s_clause 0x7
	global_load_dword v67, v[65:66], off offset:924
	global_load_dword v68, v[65:66], off offset:1232
	;; [unrolled: 1-line block ×8, first 2 shown]
	ds_read2_b32 v[17:18], v39 offset1:77
	ds_read2_b32 v[27:28], v39 offset0:154 offset1:231
	ds_read2_b32 v[29:30], v62 offset0:52 offset1:129
	;; [unrolled: 1-line block ×4, first 2 shown]
	ds_read_b32 v71, v39 offset:3080
	v_mov_b32_e32 v72, 0xb853
	v_mov_b32_e32 v73, 0x3abb
	;; [unrolled: 1-line block ×4, first 2 shown]
	s_waitcnt lgkmcnt(5)
	v_lshrrev_b32_e32 v76, 16, v17
	v_lshrrev_b32_e32 v77, 16, v18
	s_waitcnt lgkmcnt(4)
	v_lshrrev_b32_e32 v78, 16, v27
	v_lshrrev_b32_e32 v79, 16, v28
	;; [unrolled: 3-line block ×5, first 2 shown]
	s_waitcnt lgkmcnt(0)
	v_lshrrev_b32_e32 v86, 16, v71
	s_waitcnt vmcnt(10)
	v_mul_f16_sdwa v87, v76, v35 dst_sel:DWORD dst_unused:UNUSED_PAD src0_sel:DWORD src1_sel:WORD_1
	v_mul_f16_sdwa v88, v17, v35 dst_sel:DWORD dst_unused:UNUSED_PAD src0_sel:DWORD src1_sel:WORD_1
	s_waitcnt vmcnt(9)
	v_mul_f16_sdwa v89, v77, v36 dst_sel:DWORD dst_unused:UNUSED_PAD src0_sel:DWORD src1_sel:WORD_1
	v_mul_f16_sdwa v90, v18, v36 dst_sel:DWORD dst_unused:UNUSED_PAD src0_sel:DWORD src1_sel:WORD_1
	;; [unrolled: 3-line block ×3, first 2 shown]
	v_fma_f16 v17, v17, v35, -v87
	v_fmac_f16_e32 v88, v76, v35
	s_waitcnt vmcnt(7)
	v_mul_f16_sdwa v93, v79, v67 dst_sel:DWORD dst_unused:UNUSED_PAD src0_sel:DWORD src1_sel:WORD_1
	v_mul_f16_sdwa v94, v28, v67 dst_sel:DWORD dst_unused:UNUSED_PAD src0_sel:DWORD src1_sel:WORD_1
	s_waitcnt vmcnt(6)
	v_mul_f16_sdwa v95, v80, v68 dst_sel:DWORD dst_unused:UNUSED_PAD src0_sel:DWORD src1_sel:WORD_1
	v_mul_f16_sdwa v96, v29, v68 dst_sel:DWORD dst_unused:UNUSED_PAD src0_sel:DWORD src1_sel:WORD_1
	;; [unrolled: 3-line block ×8, first 2 shown]
	v_fma_f16 v18, v18, v36, -v89
	v_fmac_f16_e32 v90, v77, v36
	v_fma_f16 v27, v27, v64, -v91
	v_fmac_f16_e32 v92, v78, v64
	;; [unrolled: 2-line block ×10, first 2 shown]
	v_pack_b32_f16 v17, v17, v88
	v_pack_b32_f16 v18, v18, v90
	;; [unrolled: 1-line block ×11, first 2 shown]
	ds_write2_b32 v39, v17, v18 offset1:77
	ds_write2_b32 v39, v27, v28 offset0:154 offset1:231
	ds_write2_b32 v62, v29, v30 offset0:52 offset1:129
	;; [unrolled: 1-line block ×4, first 2 shown]
	ds_write_b32 v39, v35 offset:3080
	s_waitcnt lgkmcnt(0)
	s_barrier
	buffer_gl0_inv
	ds_read2_b32 v[27:28], v39 offset1:77
	ds_read2_b32 v[29:30], v39 offset0:154 offset1:231
	ds_read_b32 v65, v39 offset:3080
	ds_read2_b32 v[31:32], v62 offset0:52 offset1:129
	ds_read2_b32 v[33:34], v63 offset0:78 offset1:155
	;; [unrolled: 1-line block ×3, first 2 shown]
	v_mov_b32_e32 v35, 0xbbeb
	v_mov_b32_e32 v36, 0xb08e
	;; [unrolled: 1-line block ×10, first 2 shown]
	v_add_nc_u32_e32 v71, 0x200, v39
	s_waitcnt lgkmcnt(0)
	s_barrier
	buffer_gl0_inv
	v_alignbit_b32 v77, s0, v28, 16
	v_pk_add_f16 v76, v28, v27 op_sel_hi:[1,0]
	v_alignbit_b32 v78, s0, v29, 16
	v_pk_add_f16 v87, v65, v28
	v_pk_add_f16 v28, v28, v65 neg_lo:[0,1] neg_hi:[0,1]
	v_pk_add_f16 v77, v77, v27 op_sel:[0,1] op_sel_hi:[1,0]
	v_alignbit_b32 v79, s0, v30, 16
	v_pk_add_f16 v88, v18, v29
	v_pk_add_f16 v89, v29, v18 neg_lo:[0,1] neg_hi:[0,1]
	v_pk_add_f16 v90, v17, v30
	v_pk_add_f16 v91, v30, v17 neg_lo:[0,1] neg_hi:[0,1]
	;; [unrolled: 2-line block ×4, first 2 shown]
	v_pk_add_f16 v29, v76, v29
	v_mul_f16_sdwa v76, v28, v72 dst_sel:DWORD dst_unused:UNUSED_PAD src0_sel:WORD_1 src1_sel:DWORD
	v_mul_f16_sdwa v96, v87, v73 dst_sel:DWORD dst_unused:UNUSED_PAD src0_sel:WORD_1 src1_sel:DWORD
	;; [unrolled: 1-line block ×8, first 2 shown]
	v_pk_mul_f16 v103, 0xbbad, v87 op_sel_hi:[0,1]
	v_pk_add_f16 v77, v77, v78
	v_alignbit_b32 v80, s0, v31, 16
	v_mul_f16_sdwa v74, v89, v74 dst_sel:DWORD dst_unused:UNUSED_PAD src0_sel:WORD_1 src1_sel:DWORD
	v_mul_f16_sdwa v104, v88, v75 dst_sel:DWORD dst_unused:UNUSED_PAD src0_sel:WORD_1 src1_sel:DWORD
	v_mul_f16_sdwa v105, v89, v51 dst_sel:DWORD dst_unused:UNUSED_PAD src0_sel:WORD_1 src1_sel:DWORD
	v_mul_f16_sdwa v106, v88, v52 dst_sel:DWORD dst_unused:UNUSED_PAD src0_sel:WORD_1 src1_sel:DWORD
	v_mul_f16_sdwa v107, v89, v64 dst_sel:DWORD dst_unused:UNUSED_PAD src0_sel:WORD_1 src1_sel:DWORD
	v_mul_f16_sdwa v108, v88, v66 dst_sel:DWORD dst_unused:UNUSED_PAD src0_sel:WORD_1 src1_sel:DWORD
	v_mul_f16_sdwa v109, v89, v67 dst_sel:DWORD dst_unused:UNUSED_PAD src0_sel:WORD_1 src1_sel:DWORD
	v_mul_f16_sdwa v110, v88, v36 dst_sel:DWORD dst_unused:UNUSED_PAD src0_sel:WORD_1 src1_sel:DWORD
	v_pk_mul_f16 v111, 0x3abb, v88 op_sel_hi:[0,1]
	v_mul_f16_sdwa v35, v91, v35 dst_sel:DWORD dst_unused:UNUSED_PAD src0_sel:WORD_1 src1_sel:DWORD
	v_mul_f16_sdwa v112, v90, v36 dst_sel:DWORD dst_unused:UNUSED_PAD src0_sel:WORD_1 src1_sel:DWORD
	v_mul_f16_sdwa v64, v91, v64 dst_sel:DWORD dst_unused:UNUSED_PAD src0_sel:WORD_1 src1_sel:DWORD
	v_mul_f16_sdwa v113, v90, v66 dst_sel:DWORD dst_unused:UNUSED_PAD src0_sel:WORD_1 src1_sel:DWORD
	v_mul_f16_sdwa v114, v91, v68 dst_sel:DWORD dst_unused:UNUSED_PAD src0_sel:WORD_1 src1_sel:DWORD
	v_mul_f16_sdwa v115, v90, v75 dst_sel:DWORD dst_unused:UNUSED_PAD src0_sel:WORD_1 src1_sel:DWORD
	v_mul_f16_sdwa v116, v91, v72 dst_sel:DWORD dst_unused:UNUSED_PAD src0_sel:WORD_1 src1_sel:DWORD
	v_mul_f16_sdwa v117, v90, v73 dst_sel:DWORD dst_unused:UNUSED_PAD src0_sel:WORD_1 src1_sel:DWORD
	v_pk_mul_f16 v118, 0xb93d, v90 op_sel_hi:[0,1]
	;; [unrolled: 9-line block ×4, first 2 shown]
	v_pk_add_f16 v29, v29, v30
	v_fmamk_f16 v30, v87, 0x3abb, v76
	v_fmamk_f16 v78, v28, 0x3853, v96
	v_fma_f16 v76, v87, 0x3abb, -v76
	v_fmac_f16_e32 v96, 0xb853, v28
	v_fmamk_f16 v126, v87, 0x36a6, v97
	v_fmamk_f16 v127, v28, 0x3b47, v98
	v_fma_f16 v97, v87, 0x36a6, -v97
	v_fmac_f16_e32 v98, 0xbb47, v28
	;; [unrolled: 4-line block ×4, first 2 shown]
	v_pk_fma_f16 v101, 0xb482, v28, v103 op_sel:[0,0,1] op_sel_hi:[0,1,0]
	v_pk_fma_f16 v28, 0xb482, v28, v103 op_sel:[0,0,1] op_sel_hi:[0,1,0] neg_lo:[0,1,0] neg_hi:[0,1,0]
	v_pk_add_f16 v77, v77, v79
	v_alignbit_b32 v81, s0, v32, 16
	v_fmamk_f16 v103, v88, 0x36a6, v74
	v_fmamk_f16 v132, v89, 0x3b47, v104
	v_fma_f16 v74, v88, 0x36a6, -v74
	v_fmac_f16_e32 v104, 0xbb47, v89
	v_fmamk_f16 v133, v88, 0xb93d, v105
	v_fmamk_f16 v134, v89, 0x3a0c, v106
	v_fma_f16 v105, v88, 0xb93d, -v105
	v_fmac_f16_e32 v106, 0xba0c, v89
	v_fmamk_f16 v135, v88, 0xbbad, v107
	v_fmamk_f16 v136, v89, 0xb482, v108
	v_fma_f16 v107, v88, 0xbbad, -v107
	v_fmac_f16_e32 v108, 0x3482, v89
	v_fmamk_f16 v137, v88, 0xb08e, v109
	v_fmamk_f16 v138, v89, 0xbbeb, v110
	v_fma_f16 v88, v88, 0xb08e, -v109
	v_fmac_f16_e32 v110, 0x3beb, v89
	v_pk_fma_f16 v109, 0x3853, v89, v111 op_sel:[0,0,1] op_sel_hi:[0,1,0]
	v_pk_fma_f16 v89, 0x3853, v89, v111 op_sel:[0,0,1] op_sel_hi:[0,1,0] neg_lo:[0,1,0] neg_hi:[0,1,0]
	v_fmamk_f16 v111, v90, 0xb08e, v35
	v_fmamk_f16 v139, v91, 0x3beb, v112
	v_fma_f16 v35, v90, 0xb08e, -v35
	v_fmac_f16_e32 v112, 0xbbeb, v91
	v_fmamk_f16 v140, v90, 0xbbad, v64
	v_fmamk_f16 v141, v91, 0xb482, v113
	v_fma_f16 v64, v90, 0xbbad, -v64
	v_fmac_f16_e32 v113, 0x3482, v91
	v_fmamk_f16 v142, v90, 0x36a6, v114
	v_fmamk_f16 v143, v91, 0xbb47, v115
	v_fma_f16 v114, v90, 0x36a6, -v114
	v_fmac_f16_e32 v115, 0x3b47, v91
	v_fmamk_f16 v144, v90, 0x3abb, v116
	v_fmamk_f16 v145, v91, 0x3853, v117
	v_fma_f16 v90, v90, 0x3abb, -v116
	v_fmac_f16_e32 v117, 0xb853, v91
	v_pk_fma_f16 v116, 0xba0c, v91, v118 op_sel:[0,0,1] op_sel_hi:[0,1,0]
	v_pk_fma_f16 v91, 0xba0c, v91, v118 op_sel:[0,0,1] op_sel_hi:[0,1,0] neg_lo:[0,1,0] neg_hi:[0,1,0]
	;; [unrolled: 18-line block ×3, first 2 shown]
	v_fmamk_f16 v124, v94, 0xbbad, v69
	v_fmamk_f16 v153, v95, 0x3482, v66
	v_fma_f16 v69, v94, 0xbbad, -v69
	v_fmac_f16_e32 v66, 0xb482, v95
	v_fmamk_f16 v154, v94, 0x3abb, v70
	v_fmamk_f16 v155, v95, 0xb853, v73
	v_fma_f16 v70, v94, 0x3abb, -v70
	v_fmac_f16_e32 v73, 0x3853, v95
	;; [unrolled: 4-line block ×3, first 2 shown]
	v_fmamk_f16 v159, v94, 0x36a6, v68
	v_fma_f16 v68, v94, 0x36a6, -v68
	v_fmamk_f16 v94, v95, 0xbb47, v75
	v_fmac_f16_e32 v75, 0x3b47, v95
	v_pk_fma_f16 v160, 0xbbeb, v95, v125 op_sel:[0,0,1] op_sel_hi:[0,1,0]
	v_pk_fma_f16 v95, 0xbbeb, v95, v125 op_sel:[0,0,1] op_sel_hi:[0,1,0] neg_lo:[0,1,0] neg_hi:[0,1,0]
	v_add_f16_e32 v30, v30, v27
	v_add_f16_sdwa v51, v78, v27 dst_sel:DWORD dst_unused:UNUSED_PAD src0_sel:DWORD src1_sel:WORD_1
	v_add_f16_e32 v76, v76, v27
	v_add_f16_sdwa v78, v96, v27 dst_sel:DWORD dst_unused:UNUSED_PAD src0_sel:DWORD src1_sel:WORD_1
	;; [unrolled: 2-line block ×7, first 2 shown]
	v_add_f16_e32 v87, v87, v27
	v_pk_add_f16 v29, v29, v31
	v_add_f16_sdwa v31, v102, v27 dst_sel:DWORD dst_unused:UNUSED_PAD src0_sel:DWORD src1_sel:WORD_1
	v_pk_add_f16 v79, v101, v27 op_sel:[0,1] op_sel_hi:[1,0]
	v_pk_add_f16 v27, v28, v27 op_sel:[0,1] op_sel_hi:[1,0]
	v_pk_add_f16 v28, v77, v80
	v_alignbit_b32 v82, s0, v33, 16
	v_pk_add_f16 v29, v29, v32
	v_add_f16_e32 v30, v103, v30
	v_add_f16_e32 v32, v132, v51
	;; [unrolled: 1-line block ×10, first 2 shown]
	v_pk_add_f16 v28, v28, v81
	v_alignbit_b32 v83, s0, v34, 16
	v_add_f16_e32 v98, v107, v99
	v_add_f16_e32 v99, v108, v100
	;; [unrolled: 1-line block ×3, first 2 shown]
	v_pk_add_f16 v29, v29, v33
	v_add_f16_e32 v30, v111, v30
	v_add_f16_e32 v33, v35, v51
	;; [unrolled: 1-line block ×9, first 2 shown]
	v_pk_add_f16 v28, v28, v82
	v_add_f16_e32 v100, v137, v128
	v_add_f16_e32 v101, v138, v129
	;; [unrolled: 1-line block ×3, first 2 shown]
	v_pk_add_f16 v79, v109, v79
	v_pk_add_f16 v27, v89, v27
	v_alignbit_b32 v84, s0, v17, 16
	v_add_f16_e32 v81, v115, v99
	v_add_f16_e32 v87, v90, v87
	v_pk_add_f16 v29, v29, v34
	v_add_f16_e32 v30, v118, v30
	v_add_f16_e32 v33, v119, v33
	v_add_f16_e32 v34, v120, v35
	v_add_f16_e32 v35, v147, v51
	v_add_f16_e32 v51, v148, v74
	v_add_f16_e32 v64, v67, v64
	v_add_f16_e32 v67, v36, v76
	v_add_f16_e32 v74, v149, v77
	v_add_f16_e32 v76, v150, v78
	v_pk_add_f16 v83, v28, v83
	v_add_f16_e32 v32, v139, v32
	v_add_f16_e32 v80, v114, v98
	;; [unrolled: 1-line block ×5, first 2 shown]
	v_pk_add_f16 v79, v116, v79
	v_pk_add_f16 v27, v91, v27
	v_alignbit_b32 v85, s0, v18, 16
	v_add_f16_e32 v77, v121, v81
	v_add_f16_e32 v81, v92, v87
	v_pk_add_f16 v17, v29, v17
	v_add_f16_e32 v87, v124, v30
	v_add_f16_e32 v30, v69, v33
	;; [unrolled: 1-line block ×8, first 2 shown]
	v_pk_add_f16 v70, v83, v84
	v_add_f16_e32 v32, v146, v32
	v_add_f16_e32 v72, v72, v80
	;; [unrolled: 1-line block ×5, first 2 shown]
	v_pk_add_f16 v79, v122, v79
	v_pk_add_f16 v82, v93, v27
	v_alignbit_b32 v86, s0, v65, 16
	v_pk_add_f16 v17, v17, v18
	v_pack_b32_f16 v18, v33, v34
	v_pack_b32_f16 v34, v64, v66
	v_pk_add_f16 v64, v70, v85
	v_add_f16_e32 v32, v153, v32
	v_add_f16_e32 v51, v73, v67
	;; [unrolled: 1-line block ×6, first 2 shown]
	v_pk_add_f16 v31, v160, v79
	v_pk_add_f16 v68, v95, v82
	v_add_f16_e32 v28, v158, v72
	v_add_f16_e32 v52, v52, v77
	v_pk_add_f16 v17, v17, v65
	v_pk_add_f16 v64, v64, v86
	v_pack_b32_f16 v32, v87, v32
	v_pack_b32_f16 v33, v67, v69
	v_alignbit_b32 v66, v31, v68, 16
	v_alignbit_b32 v31, v68, v31, 16
	v_pack_b32_f16 v67, v28, v52
	v_pack_b32_f16 v65, v27, v35
	;; [unrolled: 1-line block ×4, first 2 shown]
	v_perm_b32 v17, v17, v64, 0x1000504
	ds_write2_b32 v53, v32, v18 offset0:1 offset1:2
	ds_write2_b32 v53, v34, v33 offset0:3 offset1:4
	;; [unrolled: 1-line block ×5, first 2 shown]
	ds_write_b32 v53, v17
	s_waitcnt lgkmcnt(0)
	s_barrier
	buffer_gl0_inv
	ds_read2_b32 v[17:18], v39 offset1:121
	ds_read2_b32 v[33:34], v71 offset0:114 offset1:235
	ds_read2_b32 v[31:32], v63 offset0:100 offset1:221
	ds_read_b32 v53, v39 offset:2904
	s_and_saveexec_b32 s0, vcc_lo
	s_cbranch_execz .LBB0_7
; %bb.6:
	ds_read2_b32 v[27:28], v39 offset0:77 offset1:198
	ds_read2_b32 v[29:30], v62 offset0:63 offset1:184
	;; [unrolled: 1-line block ×3, first 2 shown]
	ds_read_b32 v59, v39 offset:3212
	s_waitcnt lgkmcnt(3)
	v_lshrrev_b32_e32 v35, 16, v27
	v_lshrrev_b32_e32 v52, 16, v28
	s_waitcnt lgkmcnt(2)
	v_lshrrev_b32_e32 v51, 16, v29
	v_lshrrev_b32_e32 v36, 16, v30
	;; [unrolled: 3-line block ×3, first 2 shown]
	s_waitcnt lgkmcnt(0)
	v_lshrrev_b32_e32 v60, 16, v59
.LBB0_7:
	s_or_b32 exec_lo, exec_lo, s0
	s_waitcnt lgkmcnt(3)
	v_lshrrev_b32_e32 v61, 16, v18
	s_waitcnt lgkmcnt(2)
	v_lshrrev_b32_e32 v62, 16, v33
	v_lshrrev_b32_e32 v63, 16, v34
	v_mul_f16_sdwa v64, v4, v18 dst_sel:DWORD dst_unused:UNUSED_PAD src0_sel:WORD_1 src1_sel:DWORD
	s_waitcnt lgkmcnt(1)
	v_lshrrev_b32_e32 v65, 16, v31
	v_mul_f16_sdwa v66, v4, v61 dst_sel:DWORD dst_unused:UNUSED_PAD src0_sel:WORD_1 src1_sel:DWORD
	v_lshrrev_b32_e32 v67, 16, v32
	s_waitcnt lgkmcnt(0)
	v_lshrrev_b32_e32 v68, 16, v53
	v_fma_f16 v61, v4, v61, -v64
	v_mul_f16_sdwa v64, v5, v62 dst_sel:DWORD dst_unused:UNUSED_PAD src0_sel:WORD_1 src1_sel:DWORD
	v_fmac_f16_e32 v66, v4, v18
	v_mul_f16_sdwa v4, v5, v33 dst_sel:DWORD dst_unused:UNUSED_PAD src0_sel:WORD_1 src1_sel:DWORD
	v_mul_f16_sdwa v18, v6, v63 dst_sel:DWORD dst_unused:UNUSED_PAD src0_sel:WORD_1 src1_sel:DWORD
	;; [unrolled: 1-line block ×4, first 2 shown]
	v_fmac_f16_e32 v64, v5, v33
	v_fma_f16 v4, v5, v62, -v4
	v_fmac_f16_e32 v18, v6, v34
	v_fma_f16 v5, v6, v63, -v69
	v_mul_f16_sdwa v6, v22, v68 dst_sel:DWORD dst_unused:UNUSED_PAD src0_sel:WORD_1 src1_sel:DWORD
	v_mul_f16_sdwa v33, v22, v53 dst_sel:DWORD dst_unused:UNUSED_PAD src0_sel:WORD_1 src1_sel:DWORD
	;; [unrolled: 1-line block ×4, first 2 shown]
	v_fmac_f16_e32 v70, v7, v31
	v_mul_f16_sdwa v31, v7, v31 dst_sel:DWORD dst_unused:UNUSED_PAD src0_sel:WORD_1 src1_sel:DWORD
	v_fmac_f16_e32 v6, v22, v53
	v_fma_f16 v22, v22, v68, -v33
	v_fmac_f16_e32 v34, v21, v32
	v_fma_f16 v21, v21, v67, -v62
	v_fma_f16 v7, v7, v65, -v31
	v_add_f16_e32 v31, v66, v6
	v_add_f16_e32 v32, v61, v22
	v_sub_f16_e32 v22, v61, v22
	v_add_f16_e32 v53, v4, v21
	v_add_f16_e32 v33, v64, v34
	;; [unrolled: 1-line block ×3, first 2 shown]
	v_sub_f16_e32 v34, v64, v34
	v_sub_f16_e32 v4, v4, v21
	v_add_f16_e32 v62, v53, v32
	v_add_f16_e32 v21, v18, v70
	v_sub_f16_e32 v5, v7, v5
	v_add_f16_e32 v7, v33, v31
	v_sub_f16_e32 v64, v53, v32
	v_sub_f16_e32 v32, v32, v61
	;; [unrolled: 1-line block ×3, first 2 shown]
	v_add_f16_e32 v61, v61, v62
	v_sub_f16_e32 v18, v70, v18
	v_sub_f16_e32 v63, v33, v31
	;; [unrolled: 1-line block ×4, first 2 shown]
	v_add_f16_e32 v7, v21, v7
	v_add_f16_sdwa v21, v61, v17 dst_sel:DWORD dst_unused:UNUSED_PAD src0_sel:DWORD src1_sel:WORD_1
	v_sub_f16_e32 v6, v66, v6
	v_add_f16_e32 v62, v18, v34
	v_add_f16_e32 v65, v5, v4
	v_sub_f16_e32 v66, v18, v34
	v_sub_f16_e32 v67, v5, v4
	v_add_f16_e32 v17, v7, v17
	v_lshlrev_b32_e32 v68, 16, v21
	v_sub_f16_e32 v34, v34, v6
	v_sub_f16_e32 v4, v4, v22
	;; [unrolled: 1-line block ×4, first 2 shown]
	v_add_f16_e32 v6, v62, v6
	v_add_f16_e32 v22, v65, v22
	v_or_b32_sdwa v62, v68, v17 dst_sel:DWORD dst_unused:UNUSED_PAD src0_sel:DWORD src1_sel:WORD_0
	v_mul_f16_e32 v31, 0x3a52, v31
	v_mul_f16_e32 v32, 0x3a52, v32
	;; [unrolled: 1-line block ×8, first 2 shown]
	v_fmac_f16_e32 v17, 0xbcab, v7
	v_fmac_f16_e32 v21, 0xbcab, v61
	v_fmamk_f16 v7, v33, 0x2b26, v31
	v_fmamk_f16 v33, v53, 0x2b26, v32
	v_fma_f16 v53, v63, 0x39e0, -v65
	v_fma_f16 v61, v64, 0x39e0, -v68
	;; [unrolled: 1-line block ×4, first 2 shown]
	v_fmamk_f16 v63, v18, 0xb574, v66
	v_fmamk_f16 v64, v5, 0xb574, v67
	v_fma_f16 v34, v34, 0xbb00, -v66
	v_fma_f16 v4, v4, 0xbb00, -v67
	;; [unrolled: 1-line block ×4, first 2 shown]
	v_add_f16_e32 v7, v7, v17
	v_add_f16_e32 v33, v33, v21
	v_fmac_f16_e32 v63, 0xb70e, v6
	v_fmac_f16_e32 v64, 0xb70e, v22
	v_add_f16_e32 v53, v53, v17
	v_add_f16_e32 v61, v61, v21
	;; [unrolled: 1-line block ×4, first 2 shown]
	v_fmac_f16_e32 v34, 0xb70e, v6
	v_fmac_f16_e32 v5, 0xb70e, v22
	;; [unrolled: 1-line block ×4, first 2 shown]
	v_add_f16_e32 v6, v64, v7
	v_sub_f16_e32 v22, v33, v63
	v_add_f16_e32 v31, v5, v17
	v_sub_f16_e32 v32, v21, v18
	v_sub_f16_e32 v65, v53, v4
	v_add_f16_e32 v66, v34, v61
	v_add_f16_e32 v4, v4, v53
	v_sub_f16_e32 v34, v61, v34
	v_sub_f16_e32 v5, v17, v5
	v_add_f16_e32 v17, v18, v21
	v_sub_f16_e32 v7, v7, v64
	v_add_f16_e32 v18, v63, v33
	v_pack_b32_f16 v6, v6, v22
	v_pack_b32_f16 v21, v31, v32
	;; [unrolled: 1-line block ×6, first 2 shown]
	s_barrier
	buffer_gl0_inv
	ds_write2_b32 v56, v62, v6 offset1:11
	ds_write2_b32 v56, v21, v22 offset0:22 offset1:33
	ds_write2_b32 v56, v4, v5 offset0:44 offset1:55
	ds_write_b32 v56, v7 offset:264
	s_and_saveexec_b32 s0, vcc_lo
	s_cbranch_execz .LBB0_9
; %bb.8:
	v_mul_f16_sdwa v4, v0, v52 dst_sel:DWORD dst_unused:UNUSED_PAD src0_sel:WORD_1 src1_sel:DWORD
	v_mul_f16_sdwa v5, v20, v60 dst_sel:DWORD dst_unused:UNUSED_PAD src0_sel:WORD_1 src1_sel:DWORD
	;; [unrolled: 1-line block ×5, first 2 shown]
	v_fmac_f16_e32 v4, v0, v28
	v_fmac_f16_e32 v5, v20, v59
	v_mul_f16_sdwa v17, v1, v51 dst_sel:DWORD dst_unused:UNUSED_PAD src0_sel:WORD_1 src1_sel:DWORD
	v_mul_f16_sdwa v28, v0, v28 dst_sel:DWORD dst_unused:UNUSED_PAD src0_sel:WORD_1 src1_sel:DWORD
	v_fmac_f16_e32 v18, v19, v26
	v_fma_f16 v20, v20, v60, -v22
	v_mul_f16_sdwa v22, v19, v26 dst_sel:DWORD dst_unused:UNUSED_PAD src0_sel:WORD_1 src1_sel:DWORD
	v_mul_f16_sdwa v26, v1, v29 dst_sel:DWORD dst_unused:UNUSED_PAD src0_sel:WORD_1 src1_sel:DWORD
	;; [unrolled: 1-line block ×3, first 2 shown]
	v_fmac_f16_e32 v6, v3, v25
	v_fmac_f16_e32 v17, v1, v29
	v_fma_f16 v0, v0, v52, -v28
	v_mul_f16_sdwa v28, v2, v30 dst_sel:DWORD dst_unused:UNUSED_PAD src0_sel:WORD_1 src1_sel:DWORD
	v_mul_f16_sdwa v25, v3, v25 dst_sel:DWORD dst_unused:UNUSED_PAD src0_sel:WORD_1 src1_sel:DWORD
	v_fma_f16 v19, v19, v58, -v22
	v_fma_f16 v1, v1, v51, -v26
	v_fmac_f16_e32 v7, v2, v30
	v_fma_f16 v2, v2, v36, -v28
	v_fma_f16 v3, v3, v57, -v25
	v_add_f16_e32 v25, v20, v0
	v_add_f16_e32 v26, v19, v1
	v_sub_f16_e32 v21, v4, v5
	v_sub_f16_e32 v31, v6, v7
	;; [unrolled: 1-line block ×3, first 2 shown]
	v_add_f16_e32 v29, v2, v3
	v_add_f16_e32 v32, v26, v25
	;; [unrolled: 1-line block ×3, first 2 shown]
	v_sub_f16_e32 v30, v21, v31
	v_sub_f16_e32 v28, v31, v22
	v_add_f16_e32 v31, v31, v22
	v_add_f16_e32 v32, v29, v32
	;; [unrolled: 1-line block ×4, first 2 shown]
	v_sub_f16_e32 v2, v3, v2
	v_add_f16_e32 v17, v31, v21
	v_add_f16_e32 v35, v35, v32
	;; [unrolled: 1-line block ×3, first 2 shown]
	v_sub_f16_e32 v1, v1, v19
	v_sub_f16_e32 v0, v0, v20
	v_sub_f16_e32 v33, v25, v29
	v_fmamk_f16 v7, v32, 0xbcab, v35
	v_sub_f16_e32 v32, v4, v6
	v_add_f16_e32 v31, v6, v31
	v_sub_f16_e32 v20, v2, v1
	v_sub_f16_e32 v36, v0, v2
	v_add_f16_e32 v2, v2, v1
	v_mul_f16_e32 v33, 0x3a52, v33
	v_sub_f16_e32 v29, v29, v26
	v_mul_f16_e32 v3, 0x3a52, v32
	v_sub_f16_e32 v6, v6, v5
	v_add_f16_e32 v19, v27, v31
	v_sub_f16_e32 v21, v22, v21
	v_add_f16_e32 v2, v2, v0
	v_sub_f16_e32 v0, v1, v0
	v_mul_f16_e32 v28, 0x3846, v28
	v_fmamk_f16 v18, v29, 0x2b26, v33
	v_mul_f16_e32 v29, 0x2b26, v29
	v_fmamk_f16 v32, v6, 0x2b26, v3
	v_fmamk_f16 v31, v31, 0xbcab, v19
	v_mul_f16_e32 v20, 0x3846, v20
	v_mul_f16_e32 v6, 0x2b26, v6
	v_sub_f16_e32 v1, v26, v25
	v_sub_f16_e32 v4, v5, v4
	v_mul_f16_e32 v51, 0xbb00, v21
	v_mul_f16_e32 v25, 0xbb00, v0
	v_fmamk_f16 v34, v30, 0xb574, v28
	v_add_f16_e32 v22, v32, v31
	v_fmamk_f16 v32, v36, 0xb574, v20
	v_fma_f16 v26, v1, 0xb9e0, -v33
	v_fma_f16 v3, v4, 0xb9e0, -v3
	;; [unrolled: 1-line block ×5, first 2 shown]
	v_mov_b32_e32 v6, 0x4d
	v_fma_f16 v5, v30, 0x3574, -v51
	v_fma_f16 v25, v36, 0x3574, -v25
	;; [unrolled: 1-line block ×3, first 2 shown]
	v_fmac_f16_e32 v34, 0xb70e, v17
	v_add_f16_e32 v18, v18, v7
	v_fmac_f16_e32 v32, 0xb70e, v2
	v_add_f16_e32 v1, v1, v7
	v_fmac_f16_e32 v21, 0xb70e, v17
	v_mul_u32_u24_sdwa v6, v55, v6 dst_sel:DWORD dst_unused:UNUSED_PAD src0_sel:WORD_0 src1_sel:DWORD
	v_fmac_f16_e32 v5, 0xb70e, v17
	v_add_f16_e32 v26, v26, v7
	v_add_f16_e32 v3, v3, v31
	v_fmac_f16_e32 v25, 0xb70e, v2
	v_fmac_f16_e32 v0, 0xb70e, v2
	v_add_f16_e32 v2, v4, v31
	v_add_f16_e32 v27, v34, v18
	v_sub_f16_e32 v17, v1, v21
	v_add_f16_e32 v1, v21, v1
	v_add_nc_u32_sdwa v6, v6, v54 dst_sel:DWORD dst_unused:UNUSED_PAD src0_sel:DWORD src1_sel:BYTE_0
	v_sub_f16_e32 v18, v18, v34
	v_add_f16_e32 v21, v32, v22
	v_add_f16_e32 v4, v5, v26
	v_sub_f16_e32 v7, v3, v25
	v_add_f16_e32 v20, v0, v2
	v_sub_f16_e32 v5, v26, v5
	v_add_f16_e32 v3, v25, v3
	v_sub_f16_e32 v0, v2, v0
	v_sub_f16_e32 v30, v22, v32
	v_lshl_add_u32 v2, v6, 2, v50
	v_pack_b32_f16 v6, v19, v35
	v_pack_b32_f16 v18, v21, v18
	;; [unrolled: 1-line block ×7, first 2 shown]
	ds_write2_b32 v2, v6, v18 offset1:11
	ds_write2_b32 v2, v3, v0 offset0:22 offset1:33
	ds_write2_b32 v2, v1, v4 offset0:44 offset1:55
	ds_write_b32 v2, v5 offset:264
.LBB0_9:
	s_or_b32 exec_lo, exec_lo, s0
	s_waitcnt lgkmcnt(0)
	s_barrier
	buffer_gl0_inv
	ds_read2_b32 v[3:4], v39 offset1:77
	ds_read2_b32 v[5:6], v39 offset0:154 offset1:231
	v_add_nc_u32_e32 v2, 0x400, v39
	v_add_nc_u32_e32 v1, 0x600, v39
	;; [unrolled: 1-line block ×3, first 2 shown]
	ds_read_b32 v7, v39 offset:3080
	ds_read2_b32 v[17:18], v2 offset0:52 offset1:129
	ds_read2_b32 v[19:20], v1 offset0:78 offset1:155
	ds_read2_b32 v[21:22], v0 offset0:104 offset1:181
	s_mov_b32 s2, 0xe9078e5b
	s_mov_b32 s3, 0x3f5357f3
	s_waitcnt lgkmcnt(5)
	v_lshrrev_b32_e32 v25, 16, v4
	s_waitcnt lgkmcnt(4)
	v_lshrrev_b32_e32 v26, 16, v5
	v_lshrrev_b32_e32 v27, 16, v6
	v_mul_f16_sdwa v29, v12, v4 dst_sel:DWORD dst_unused:UNUSED_PAD src0_sel:WORD_1 src1_sel:DWORD
	v_mul_f16_sdwa v30, v13, v5 dst_sel:DWORD dst_unused:UNUSED_PAD src0_sel:WORD_1 src1_sel:DWORD
	s_waitcnt lgkmcnt(2)
	v_lshrrev_b32_e32 v32, 16, v17
	v_mul_f16_sdwa v50, v12, v25 dst_sel:DWORD dst_unused:UNUSED_PAD src0_sel:WORD_1 src1_sel:DWORD
	v_mul_f16_sdwa v51, v13, v26 dst_sel:DWORD dst_unused:UNUSED_PAD src0_sel:WORD_1 src1_sel:DWORD
	v_mul_f16_sdwa v31, v14, v6 dst_sel:DWORD dst_unused:UNUSED_PAD src0_sel:WORD_1 src1_sel:DWORD
	v_lshrrev_b32_e32 v33, 16, v18
	v_fma_f16 v25, v12, v25, -v29
	v_mul_f16_sdwa v29, v14, v27 dst_sel:DWORD dst_unused:UNUSED_PAD src0_sel:WORD_1 src1_sel:DWORD
	v_fmac_f16_e32 v50, v12, v4
	v_fmac_f16_e32 v51, v13, v5
	v_mul_f16_sdwa v4, v15, v32 dst_sel:DWORD dst_unused:UNUSED_PAD src0_sel:WORD_1 src1_sel:DWORD
	v_mul_f16_sdwa v5, v15, v17 dst_sel:DWORD dst_unused:UNUSED_PAD src0_sel:WORD_1 src1_sel:DWORD
	v_fma_f16 v12, v13, v26, -v30
	v_fmac_f16_e32 v29, v14, v6
	v_fma_f16 v6, v14, v27, -v31
	v_fmac_f16_e32 v4, v15, v17
	v_fma_f16 v5, v15, v32, -v5
	v_add_f16_e32 v13, v50, v3
	v_mul_f16_sdwa v14, v8, v33 dst_sel:DWORD dst_unused:UNUSED_PAD src0_sel:WORD_1 src1_sel:DWORD
	v_mul_f16_sdwa v15, v8, v18 dst_sel:DWORD dst_unused:UNUSED_PAD src0_sel:WORD_1 src1_sel:DWORD
	v_add_f16_sdwa v26, v25, v3 dst_sel:DWORD dst_unused:UNUSED_PAD src0_sel:DWORD src1_sel:WORD_1
	s_waitcnt lgkmcnt(1)
	v_lshrrev_b32_e32 v34, 16, v19
	v_add_f16_e32 v13, v13, v51
	v_fmac_f16_e32 v14, v8, v18
	v_fma_f16 v8, v8, v33, -v15
	v_add_f16_e32 v15, v26, v12
	v_lshrrev_b32_e32 v35, 16, v20
	v_mul_f16_sdwa v17, v9, v34 dst_sel:DWORD dst_unused:UNUSED_PAD src0_sel:WORD_1 src1_sel:DWORD
	v_add_f16_e32 v13, v13, v29
	s_waitcnt lgkmcnt(0)
	v_lshrrev_b32_e32 v36, 16, v21
	v_add_f16_e32 v15, v15, v6
	v_lshrrev_b32_e32 v52, 16, v22
	v_fmac_f16_e32 v17, v9, v19
	v_mul_f16_sdwa v18, v9, v19 dst_sel:DWORD dst_unused:UNUSED_PAD src0_sel:WORD_1 src1_sel:DWORD
	v_mul_f16_sdwa v19, v10, v35 dst_sel:DWORD dst_unused:UNUSED_PAD src0_sel:WORD_1 src1_sel:DWORD
	;; [unrolled: 1-line block ×3, first 2 shown]
	v_add_f16_e32 v13, v13, v4
	v_add_f16_e32 v15, v15, v5
	v_lshrrev_b32_e32 v28, 16, v7
	v_fma_f16 v9, v9, v34, -v18
	v_fmac_f16_e32 v19, v10, v20
	v_fma_f16 v10, v10, v35, -v26
	v_add_f16_e32 v13, v13, v14
	v_mul_f16_sdwa v18, v11, v36 dst_sel:DWORD dst_unused:UNUSED_PAD src0_sel:WORD_1 src1_sel:DWORD
	v_mul_f16_sdwa v20, v11, v21 dst_sel:DWORD dst_unused:UNUSED_PAD src0_sel:WORD_1 src1_sel:DWORD
	;; [unrolled: 1-line block ×3, first 2 shown]
	v_add_f16_e32 v15, v15, v8
	v_add_f16_e32 v13, v13, v17
	v_fmac_f16_e32 v18, v11, v21
	v_fma_f16 v11, v11, v36, -v20
	v_fmac_f16_e32 v26, v23, v22
	v_add_f16_e32 v15, v15, v9
	v_mul_f16_sdwa v20, v23, v22 dst_sel:DWORD dst_unused:UNUSED_PAD src0_sel:WORD_1 src1_sel:DWORD
	v_mul_f16_sdwa v21, v24, v28 dst_sel:DWORD dst_unused:UNUSED_PAD src0_sel:WORD_1 src1_sel:DWORD
	;; [unrolled: 1-line block ×3, first 2 shown]
	v_add_f16_e32 v13, v13, v19
	v_add_f16_e32 v15, v15, v10
	v_fma_f16 v20, v23, v52, -v20
	v_fmac_f16_e32 v21, v24, v7
	v_fma_f16 v7, v24, v28, -v22
	v_add_f16_e32 v13, v13, v18
	v_add_f16_e32 v15, v15, v11
	v_sub_f16_e32 v56, v12, v20
	v_add_f16_e32 v24, v50, v21
	v_sub_f16_e32 v22, v25, v7
	v_add_f16_e32 v13, v13, v26
	v_add_f16_e32 v15, v15, v20
	;; [unrolled: 1-line block ×4, first 2 shown]
	v_mul_f16_e32 v25, 0xb853, v22
	v_add_f16_e32 v13, v13, v21
	v_add_f16_sdwa v7, v15, v7 dst_sel:WORD_1 dst_unused:UNUSED_PAD src0_sel:DWORD src1_sel:DWORD
	v_sub_f16_e32 v15, v50, v21
	v_mul_f16_e32 v21, 0x3abb, v23
	v_fmamk_f16 v27, v24, 0x3abb, v25
	v_mul_f16_e32 v28, 0xbb47, v22
	v_mul_f16_e32 v31, 0x36a6, v23
	;; [unrolled: 1-line block ×9, first 2 shown]
	v_add_f16_e32 v12, v12, v20
	v_or_b32_sdwa v7, v7, v13 dst_sel:DWORD dst_unused:UNUSED_PAD src0_sel:DWORD src1_sel:WORD_0
	v_fmamk_f16 v13, v15, 0x3853, v21
	v_add_f16_e32 v27, v27, v3
	v_fma_f16 v25, v24, 0x3abb, -v25
	v_fmac_f16_e32 v21, 0xb853, v15
	v_fmamk_f16 v30, v24, 0x36a6, v28
	v_fmamk_f16 v33, v15, 0x3b47, v31
	v_fma_f16 v28, v24, 0x36a6, -v28
	v_fmac_f16_e32 v31, 0xbb47, v15
	v_fmamk_f16 v34, v24, 0xb08e, v32
	v_fmamk_f16 v36, v15, 0x3beb, v35
	;; [unrolled: 4-line block ×4, first 2 shown]
	v_fma_f16 v20, v24, 0xbbad, -v22
	v_fmac_f16_e32 v23, 0xb482, v15
	v_sub_f16_e32 v15, v51, v26
	v_fmamk_f16 v22, v58, 0x36a6, v59
	v_mul_f16_e32 v24, 0x36a6, v12
	v_add_f16_sdwa v13, v13, v3 dst_sel:DWORD dst_unused:UNUSED_PAD src0_sel:DWORD src1_sel:WORD_1
	v_add_f16_e32 v25, v25, v3
	v_add_f16_sdwa v21, v21, v3 dst_sel:DWORD dst_unused:UNUSED_PAD src0_sel:DWORD src1_sel:WORD_1
	v_add_f16_e32 v30, v30, v3
	;; [unrolled: 2-line block ×10, first 2 shown]
	v_fmamk_f16 v23, v15, 0x3b47, v24
	v_mul_f16_e32 v27, 0xba0c, v56
	v_fma_f16 v51, v58, 0x36a6, -v59
	v_fmac_f16_e32 v24, 0xbb47, v15
	v_mul_f16_e32 v57, 0xb93d, v12
	v_add_f16_e32 v13, v23, v13
	v_fmamk_f16 v23, v58, 0xb93d, v27
	v_add_f16_e32 v25, v51, v25
	v_add_f16_e32 v21, v24, v21
	v_fmamk_f16 v24, v15, 0x3a0c, v57
	v_mul_f16_e32 v51, 0x3482, v56
	v_add_f16_e32 v23, v23, v30
	v_fma_f16 v27, v58, 0xb93d, -v27
	v_fmac_f16_e32 v57, 0xba0c, v15
	v_add_f16_e32 v24, v24, v33
	v_fmamk_f16 v30, v58, 0xbbad, v51
	v_mul_f16_e32 v33, 0xbbad, v12
	v_add_f16_e32 v27, v27, v28
	v_add_f16_e32 v28, v57, v31
	v_mul_f16_e32 v31, 0x3beb, v56
	v_add_f16_e32 v30, v30, v34
	v_fmamk_f16 v34, v15, 0xb482, v33
	v_mul_f16_e32 v59, 0xb08e, v12
	v_mul_f16_e32 v12, 0x3abb, v12
	v_fmamk_f16 v57, v58, 0xb08e, v31
	v_fma_f16 v31, v58, 0xb08e, -v31
	v_add_f16_e32 v34, v34, v36
	v_fmamk_f16 v36, v15, 0xbbeb, v59
	v_fmac_f16_e32 v59, 0x3beb, v15
	v_fma_f16 v51, v58, 0xbbad, -v51
	v_add_f16_e32 v31, v31, v50
	v_fmac_f16_e32 v33, 0x3482, v15
	v_add_f16_e32 v36, v36, v54
	v_fmamk_f16 v54, v15, 0xb853, v12
	v_add_f16_e32 v50, v59, v52
	v_sub_f16_e32 v52, v6, v11
	v_add_f16_e32 v32, v51, v32
	v_mul_f16_e32 v51, 0x3853, v56
	v_add_f16_e32 v26, v54, v26
	v_add_f16_e32 v54, v29, v18
	;; [unrolled: 1-line block ×3, first 2 shown]
	v_mul_f16_e32 v11, 0xbbeb, v52
	v_fmac_f16_e32 v12, 0x3853, v15
	v_add_f16_e32 v33, v33, v35
	v_add_f16_e32 v35, v57, v53
	v_fmamk_f16 v53, v58, 0x3abb, v51
	v_fma_f16 v51, v58, 0x3abb, -v51
	v_sub_f16_e32 v15, v29, v18
	v_mul_f16_e32 v18, 0xb08e, v6
	v_fmamk_f16 v29, v54, 0xb08e, v11
	v_add_f16_e32 v3, v12, v3
	v_mul_f16_e32 v12, 0x3482, v52
	v_add_f16_e32 v20, v51, v20
	v_fmamk_f16 v51, v15, 0x3beb, v18
	v_add_f16_e32 v22, v29, v22
	v_fmac_f16_e32 v18, 0xbbeb, v15
	v_fmamk_f16 v29, v54, 0xbbad, v12
	v_fma_f16 v11, v54, 0xb08e, -v11
	v_add_f16_e32 v13, v51, v13
	v_mul_f16_e32 v51, 0xbbad, v6
	v_add_f16_e32 v18, v18, v21
	v_add_f16_e32 v21, v29, v23
	v_mul_f16_e32 v23, 0x3b47, v52
	v_fma_f16 v12, v54, 0xbbad, -v12
	v_mul_f16_e32 v29, 0x36a6, v6
	v_add_f16_e32 v53, v53, v55
	v_add_f16_e32 v11, v11, v25
	v_fmamk_f16 v25, v15, 0xb482, v51
	v_fmac_f16_e32 v51, 0x3482, v15
	v_fmamk_f16 v55, v54, 0x36a6, v23
	v_add_f16_e32 v12, v12, v27
	v_fmamk_f16 v27, v15, 0xbb47, v29
	v_add_f16_e32 v24, v25, v24
	v_add_f16_e32 v25, v51, v28
	;; [unrolled: 1-line block ×3, first 2 shown]
	v_mul_f16_e32 v30, 0xb853, v52
	v_fma_f16 v23, v54, 0x36a6, -v23
	v_fmac_f16_e32 v29, 0x3b47, v15
	v_add_f16_e32 v27, v27, v34
	v_mul_f16_e32 v34, 0x3abb, v6
	v_fmamk_f16 v51, v54, 0x3abb, v30
	v_add_f16_e32 v23, v23, v32
	v_add_f16_e32 v29, v29, v33
	v_mul_f16_e32 v32, 0xba0c, v52
	v_fmamk_f16 v33, v15, 0x3853, v34
	v_add_f16_e32 v35, v51, v35
	v_fma_f16 v30, v54, 0x3abb, -v30
	v_fmac_f16_e32 v34, 0xb853, v15
	v_fmamk_f16 v51, v54, 0xb93d, v32
	v_add_f16_e32 v33, v33, v36
	v_mul_f16_e32 v6, 0xb93d, v6
	v_sub_f16_e32 v36, v5, v10
	v_add_f16_e32 v5, v5, v10
	v_add_f16_e32 v30, v30, v31
	v_add_f16_e32 v31, v34, v50
	v_add_f16_e32 v34, v51, v53
	v_fmamk_f16 v50, v15, 0x3a0c, v6
	v_fma_f16 v32, v54, 0xb93d, -v32
	v_add_f16_e32 v10, v4, v19
	v_mul_f16_e32 v51, 0xba0c, v36
	v_fmac_f16_e32 v6, 0xba0c, v15
	v_sub_f16_e32 v4, v4, v19
	v_mul_f16_e32 v15, 0xb93d, v5
	v_add_f16_e32 v19, v50, v26
	v_fmamk_f16 v26, v10, 0xb93d, v51
	v_add_f16_e32 v20, v32, v20
	v_add_f16_e32 v3, v6, v3
	v_fmamk_f16 v6, v4, 0x3a0c, v15
	v_mul_f16_e32 v32, 0x3beb, v36
	v_fmac_f16_e32 v15, 0xba0c, v4
	v_add_f16_e32 v22, v26, v22
	v_fma_f16 v26, v10, 0xb93d, -v51
	v_add_f16_e32 v6, v6, v13
	v_fmamk_f16 v13, v10, 0xb08e, v32
	v_mul_f16_e32 v50, 0xb08e, v5
	v_add_f16_e32 v15, v15, v18
	v_mul_f16_e32 v18, 0xb853, v36
	v_add_f16_e32 v11, v26, v11
	v_add_f16_e32 v13, v13, v21
	v_fmamk_f16 v21, v4, 0xbbeb, v50
	v_fma_f16 v26, v10, 0xb08e, -v32
	v_fmac_f16_e32 v50, 0x3beb, v4
	v_fmamk_f16 v32, v10, 0x3abb, v18
	v_mul_f16_e32 v51, 0x3abb, v5
	v_add_f16_e32 v21, v21, v24
	v_add_f16_e32 v12, v26, v12
	;; [unrolled: 1-line block ×4, first 2 shown]
	v_fmamk_f16 v26, v4, 0x3853, v51
	v_mul_f16_e32 v28, 0xb482, v36
	v_fma_f16 v18, v10, 0x3abb, -v18
	v_mul_f16_e32 v32, 0xbbad, v5
	v_mul_f16_e32 v36, 0x3b47, v36
	v_add_f16_e32 v26, v26, v27
	v_fmamk_f16 v27, v10, 0xbbad, v28
	v_add_f16_e32 v18, v18, v23
	v_fmamk_f16 v23, v4, 0x3482, v32
	v_fma_f16 v28, v10, 0xbbad, -v28
	v_fmac_f16_e32 v32, 0xb482, v4
	v_add_f16_e32 v27, v27, v35
	v_mul_f16_e32 v5, 0x36a6, v5
	v_add_f16_e32 v23, v23, v33
	v_fmamk_f16 v33, v10, 0x36a6, v36
	v_add_f16_e32 v28, v28, v30
	v_sub_f16_e32 v30, v8, v9
	v_add_f16_e32 v31, v32, v31
	v_add_f16_e32 v8, v8, v9
	;; [unrolled: 1-line block ×4, first 2 shown]
	v_mul_f16_e32 v35, 0xb482, v30
	v_fmac_f16_e32 v51, 0xb853, v4
	v_fmamk_f16 v33, v4, 0xbb47, v5
	v_fma_f16 v9, v10, 0x36a6, -v36
	v_fmac_f16_e32 v5, 0x3b47, v4
	v_sub_f16_e32 v4, v14, v17
	v_fmamk_f16 v10, v34, 0xbbad, v35
	v_mul_f16_e32 v14, 0xbbad, v8
	v_add_f16_e32 v17, v33, v19
	v_add_f16_e32 v3, v5, v3
	v_mul_f16_e32 v19, 0x3853, v30
	v_add_f16_e32 v5, v10, v22
	v_fmamk_f16 v10, v4, 0x3482, v14
	v_fmac_f16_e32 v14, 0xb482, v4
	v_mul_f16_e32 v22, 0x3abb, v8
	v_add_f16_e32 v9, v9, v20
	v_fma_f16 v20, v34, 0xbbad, -v35
	v_add_f16_e32 v6, v10, v6
	v_fmamk_f16 v10, v34, 0x3abb, v19
	v_add_f16_e32 v14, v14, v15
	v_fmamk_f16 v15, v4, 0xb853, v22
	v_add_f16_e32 v11, v20, v11
	v_mul_f16_e32 v20, 0xba0c, v30
	v_add_f16_e32 v10, v10, v13
	v_fma_f16 v13, v34, 0x3abb, -v19
	v_fmac_f16_e32 v22, 0x3853, v4
	v_add_f16_e32 v15, v15, v21
	v_mul_f16_e32 v21, 0xb93d, v8
	v_fmamk_f16 v19, v34, 0xb93d, v20
	v_add_f16_e32 v12, v13, v12
	v_add_f16_e32 v13, v22, v24
	v_mul_f16_e32 v22, 0x3b47, v30
	v_fmamk_f16 v24, v4, 0x3a0c, v21
	v_add_f16_e32 v29, v51, v29
	v_add_f16_e32 v19, v19, v25
	v_fma_f16 v20, v34, 0xb93d, -v20
	v_fmac_f16_e32 v21, 0xba0c, v4
	v_fmamk_f16 v25, v34, 0x36a6, v22
	v_mul_f16_e32 v33, 0x36a6, v8
	v_add_f16_e32 v24, v24, v26
	v_fma_f16 v22, v34, 0x36a6, -v22
	v_mul_f16_e32 v26, 0xbbeb, v30
	v_mul_f16_e32 v8, 0xb08e, v8
	v_add_f16_e32 v18, v20, v18
	v_add_f16_e32 v20, v21, v29
	;; [unrolled: 1-line block ×3, first 2 shown]
	v_fmamk_f16 v25, v4, 0xbb47, v33
	v_add_f16_e32 v22, v22, v28
	v_fmamk_f16 v27, v34, 0xb08e, v26
	v_fmamk_f16 v28, v4, 0x3beb, v8
	v_fmac_f16_e32 v33, 0x3b47, v4
	v_fma_f16 v26, v34, 0xb08e, -v26
	v_fmac_f16_e32 v8, 0xbbeb, v4
	v_pack_b32_f16 v4, v5, v6
	v_add_f16_e32 v23, v25, v23
	v_add_f16_e32 v5, v27, v32
	;; [unrolled: 1-line block ×6, first 2 shown]
	ds_write2_b32 v39, v7, v4 offset1:77
	v_pack_b32_f16 v4, v10, v15
	v_pack_b32_f16 v7, v19, v24
	;; [unrolled: 1-line block ×9, first 2 shown]
	ds_write2_b32 v39, v4, v7 offset0:154 offset1:231
	ds_write2_b32 v2, v8, v5 offset0:52 offset1:129
	;; [unrolled: 1-line block ×4, first 2 shown]
	ds_write_b32 v39, v11 offset:3080
	s_waitcnt lgkmcnt(0)
	s_barrier
	buffer_gl0_inv
	ds_read2_b32 v[3:4], v39 offset1:77
	s_waitcnt lgkmcnt(0)
	v_lshrrev_b32_e32 v7, 16, v3
	v_lshrrev_b32_e32 v13, 16, v4
	v_mul_f16_sdwa v5, v49, v7 dst_sel:DWORD dst_unused:UNUSED_PAD src0_sel:WORD_1 src1_sel:DWORD
	v_fmac_f16_e32 v5, v49, v3
	v_mul_f16_sdwa v3, v49, v3 dst_sel:DWORD dst_unused:UNUSED_PAD src0_sel:WORD_1 src1_sel:DWORD
	v_cvt_f32_f16_e32 v5, v5
	v_fma_f16 v3, v49, v7, -v3
	v_cvt_f64_f32_e32 v[5:6], v5
	v_cvt_f32_f16_e32 v3, v3
	v_cvt_f64_f32_e32 v[7:8], v3
	v_mul_f64 v[5:6], v[5:6], s[2:3]
	v_mul_f64 v[7:8], v[7:8], s[2:3]
	v_and_or_b32 v3, 0x1ff, v6, v5
	v_lshrrev_b32_e32 v5, 8, v6
	v_bfe_u32 v11, v6, 20, 11
	v_cmp_ne_u32_e32 vcc_lo, 0, v3
	v_and_or_b32 v7, 0x1ff, v8, v7
	v_lshrrev_b32_e32 v17, 8, v8
	v_bfe_u32 v18, v8, 20, 11
	v_lshrrev_b32_e32 v8, 16, v8
	v_cndmask_b32_e64 v3, 0, 1, vcc_lo
	v_cmp_ne_u32_e32 vcc_lo, 0, v7
	v_and_or_b32 v14, 0xffe, v5, v3
	v_mul_f16_sdwa v5, v48, v13 dst_sel:DWORD dst_unused:UNUSED_PAD src0_sel:WORD_1 src1_sel:DWORD
	v_sub_nc_u32_e32 v3, 0x3f1, v11
	v_cndmask_b32_e64 v7, 0, 1, vcc_lo
	v_or_b32_e32 v12, 0x1000, v14
	v_fmac_f16_e32 v5, v48, v4
	v_med3_i32 v3, v3, 0, 13
	v_and_or_b32 v7, 0xffe, v17, v7
	v_add_nc_u32_e32 v17, 0xfffffc10, v11
	v_cvt_f32_f16_e32 v5, v5
	v_lshrrev_b32_e32 v15, v3, v12
	v_or_b32_e32 v19, 0x1000, v7
	v_cvt_f64_f32_e32 v[9:10], v5
	v_lshlrev_b32_e32 v3, v3, v15
	v_sub_nc_u32_e32 v5, 0x3f1, v18
	v_add_nc_u32_e32 v18, 0xfffffc10, v18
	v_cmp_ne_u32_e32 vcc_lo, v3, v12
	v_med3_i32 v5, v5, 0, 13
	v_mad_u64_u32 v[11:12], null, s10, v16, 0
	v_cmp_gt_i32_e64 s1, 1, v18
	v_cndmask_b32_e64 v3, 0, 1, vcc_lo
	v_lshrrev_b32_e32 v20, v5, v19
	v_cmp_gt_i32_e32 vcc_lo, 1, v17
	v_or_b32_e32 v3, v15, v3
	v_lshl_or_b32 v15, v17, 12, v14
	v_lshlrev_b32_e32 v5, v5, v20
	v_mul_f64 v[9:10], v[9:10], s[2:3]
	v_cndmask_b32_e32 v15, v15, v3, vcc_lo
	v_cmp_ne_u32_e32 vcc_lo, v5, v19
	v_mov_b32_e32 v3, v12
	v_mul_f16_sdwa v19, v48, v4 dst_sel:DWORD dst_unused:UNUSED_PAD src0_sel:WORD_1 src1_sel:DWORD
	v_and_b32_e32 v12, 7, v15
	v_cndmask_b32_e64 v5, 0, 1, vcc_lo
	v_mad_u64_u32 v[3:4], null, s11, v16, v[3:4]
	v_fma_f16 v13, v48, v13, -v19
	v_cmp_lt_i32_e32 vcc_lo, 5, v12
	v_cmp_eq_u32_e64 s0, 3, v12
	v_or_b32_e32 v4, v20, v5
	v_lshl_or_b32 v5, v18, 12, v7
	v_lshrrev_b32_e32 v12, 2, v15
	s_or_b32 vcc_lo, s0, vcc_lo
	v_cndmask_b32_e64 v15, v5, v4, s1
	v_cvt_f32_f16_e32 v4, v13
	v_add_co_ci_u32_e32 v12, vcc_lo, 0, v12, vcc_lo
	v_and_or_b32 v9, 0x1ff, v10, v9
	v_cmp_gt_i32_e32 vcc_lo, 31, v17
	v_cvt_f64_f32_e32 v[4:5], v4
	v_and_b32_e32 v13, 7, v15
	v_lshrrev_b32_e32 v16, 8, v10
	v_cmp_ne_u32_e64 s0, 0, v9
	v_cndmask_b32_e32 v12, 0x7c00, v12, vcc_lo
	v_cmp_ne_u32_e32 vcc_lo, 0, v14
	v_bfe_u32 v19, v10, 20, 11
	v_cndmask_b32_e64 v9, 0, 1, s0
	v_cmp_eq_u32_e64 s0, 3, v13
	v_cndmask_b32_e64 v14, 0, 1, vcc_lo
	v_cmp_lt_i32_e32 vcc_lo, 5, v13
	v_lshrrev_b32_e32 v13, 2, v15
	v_and_or_b32 v15, 0xffe, v16, v9
	v_sub_nc_u32_e32 v9, 0x3f1, v19
	v_lshl_or_b32 v20, v14, 9, 0x7c00
	s_or_b32 vcc_lo, s0, vcc_lo
	v_add_co_ci_u32_e32 v13, vcc_lo, 0, v13, vcc_lo
	v_cmp_ne_u32_e32 vcc_lo, 0, v7
	v_or_b32_e32 v16, 0x1000, v15
	v_med3_i32 v9, v9, 0, 13
	v_mul_f64 v[4:5], v[4:5], s[2:3]
	v_cndmask_b32_e64 v7, 0, 1, vcc_lo
	v_cmp_gt_i32_e32 vcc_lo, 31, v18
	v_lshrrev_b32_e32 v22, v9, v16
	v_lshl_or_b32 v7, v7, 9, 0x7c00
	v_cndmask_b32_e32 v21, 0x7c00, v13, vcc_lo
	v_cmp_eq_u32_e32 vcc_lo, 0x40f, v17
	ds_read2_b32 v[13:14], v39 offset0:154 offset1:231
	v_lshlrev_b32_e32 v9, v9, v22
	v_cndmask_b32_e32 v17, v12, v20, vcc_lo
	v_cmp_eq_u32_e32 vcc_lo, 0x40f, v18
	v_lshrrev_b32_e32 v20, 16, v6
	v_mov_b32_e32 v12, v3
	v_cndmask_b32_e32 v18, v21, v7, vcc_lo
	v_cmp_ne_u32_e32 vcc_lo, v9, v16
	v_add_nc_u32_e32 v16, 0xfffffc10, v19
	v_and_or_b32 v4, 0x1ff, v5, v4
	v_mad_u64_u32 v[6:7], null, s8, v46, 0
	v_cndmask_b32_e64 v9, 0, 1, vcc_lo
	v_and_or_b32 v18, 0x8000, v8, v18
	v_cmp_gt_i32_e32 vcc_lo, 1, v16
	v_and_or_b32 v17, 0x8000, v20, v17
	s_waitcnt lgkmcnt(0)
	v_lshrrev_b32_e32 v19, 16, v13
	v_or_b32_e32 v8, v22, v9
	v_lshl_or_b32 v9, v16, 12, v15
	v_mov_b32_e32 v3, v7
	v_bfe_u32 v21, v5, 20, 11
	v_and_b32_e32 v17, 0xffff, v17
	v_cndmask_b32_e32 v20, v9, v8, vcc_lo
	v_cmp_ne_u32_e32 vcc_lo, 0, v4
	v_mul_f16_sdwa v8, v47, v19 dst_sel:DWORD dst_unused:UNUSED_PAD src0_sel:WORD_1 src1_sel:DWORD
	v_lshrrev_b32_e32 v9, 8, v5
	v_mad_u64_u32 v[3:4], null, s9, v46, v[3:4]
	v_cndmask_b32_e64 v7, 0, 1, vcc_lo
	v_fmac_f16_e32 v8, v47, v13
	v_and_b32_e32 v4, 7, v20
	v_lshl_or_b32 v17, v18, 16, v17
	v_and_or_b32 v22, 0xffe, v9, v7
	v_sub_nc_u32_e32 v7, 0x3f1, v21
	v_cvt_f32_f16_e32 v8, v8
	v_cmp_lt_i32_e32 vcc_lo, 5, v4
	v_cmp_eq_u32_e64 s0, 3, v4
	v_or_b32_e32 v23, 0x1000, v22
	v_med3_i32 v24, v7, 0, 13
	v_mov_b32_e32 v7, v3
	v_lshrrev_b32_e32 v3, 2, v20
	v_cvt_f64_f32_e32 v[8:9], v8
	s_or_b32 vcc_lo, s0, vcc_lo
	v_lshrrev_b32_e32 v20, v24, v23
	v_add_co_ci_u32_e32 v18, vcc_lo, 0, v3, vcc_lo
	v_cmp_gt_i32_e32 vcc_lo, 31, v16
	v_lshlrev_b32_e32 v24, v24, v20
	v_lshlrev_b64 v[3:4], 2, v[11:12]
	v_mul_f16_sdwa v11, v47, v13 dst_sel:DWORD dst_unused:UNUSED_PAD src0_sel:WORD_1 src1_sel:DWORD
	v_cndmask_b32_e32 v13, 0x7c00, v18, vcc_lo
	v_cmp_ne_u32_e32 vcc_lo, v24, v23
	v_add_nc_u32_e32 v18, 0xfffffc10, v21
	v_fma_f16 v11, v47, v19, -v11
	v_cndmask_b32_e64 v12, 0, 1, vcc_lo
	v_cmp_ne_u32_e32 vcc_lo, 0, v15
	v_lshl_or_b32 v19, v18, 12, v22
	v_cvt_f32_f16_e32 v11, v11
	v_or_b32_e32 v12, v20, v12
	v_cndmask_b32_e64 v15, 0, 1, vcc_lo
	v_cmp_gt_i32_e32 vcc_lo, 1, v18
	v_mul_f64 v[8:9], v[8:9], s[2:3]
	v_lshl_or_b32 v15, v15, 9, 0x7c00
	v_cndmask_b32_e32 v19, v19, v12, vcc_lo
	v_cvt_f64_f32_e32 v[11:12], v11
	v_add_co_u32 v20, vcc_lo, s4, v3
	v_add_co_ci_u32_e32 v21, vcc_lo, s5, v4, vcc_lo
	v_and_b32_e32 v23, 7, v19
	v_cmp_eq_u32_e32 vcc_lo, 0x40f, v16
	v_lshlrev_b64 v[3:4], 2, v[6:7]
	v_lshrrev_b32_e32 v7, 16, v10
	v_lshrrev_b32_e32 v10, 2, v19
	v_cmp_eq_u32_e64 s0, 3, v23
	v_cndmask_b32_e32 v6, v13, v15, vcc_lo
	v_cmp_lt_i32_e32 vcc_lo, 5, v23
	v_add_co_u32 v3, s1, v20, v3
	v_add_co_ci_u32_e64 v4, s1, v21, v4, s1
	v_and_or_b32 v8, 0x1ff, v9, v8
	s_or_b32 vcc_lo, s0, vcc_lo
	v_and_or_b32 v13, 0x8000, v7, v6
	v_add_co_ci_u32_e32 v10, vcc_lo, 0, v10, vcc_lo
	v_mul_f64 v[6:7], v[11:12], s[2:3]
	v_cmp_ne_u32_e32 vcc_lo, 0, v8
	v_lshrrev_b32_e32 v11, 16, v14
	v_lshrrev_b32_e32 v12, 8, v9
	v_bfe_u32 v15, v9, 20, 11
	global_store_dword v[3:4], v17, off
	v_cndmask_b32_e64 v8, 0, 1, vcc_lo
	v_cmp_ne_u32_e32 vcc_lo, 0, v22
	v_mul_f16_sdwa v16, v45, v11 dst_sel:DWORD dst_unused:UNUSED_PAD src0_sel:WORD_1 src1_sel:DWORD
	v_and_b32_e32 v13, 0xffff, v13
	s_mul_i32 s0, s9, 0x134
	v_and_or_b32 v8, 0xffe, v12, v8
	v_cndmask_b32_e64 v19, 0, 1, vcc_lo
	v_sub_nc_u32_e32 v12, 0x3f1, v15
	v_cmp_gt_i32_e32 vcc_lo, 31, v18
	v_fmac_f16_e32 v16, v45, v14
	v_or_b32_e32 v20, 0x1000, v8
	v_lshl_or_b32 v19, v19, 9, 0x7c00
	v_med3_i32 v12, v12, 0, 13
	v_cndmask_b32_e32 v10, 0x7c00, v10, vcc_lo
	v_cmp_eq_u32_e32 vcc_lo, 0x40f, v18
	v_cvt_f32_f16_e32 v16, v16
	v_and_or_b32 v21, 0x1ff, v7, v6
	v_lshrrev_b32_e32 v18, 16, v5
	v_lshrrev_b32_e32 v17, 8, v7
	v_cndmask_b32_e32 v10, v10, v19, vcc_lo
	v_lshrrev_b32_e32 v19, v12, v20
	v_cvt_f64_f32_e32 v[5:6], v16
	v_cmp_ne_u32_e32 vcc_lo, 0, v21
	v_add_nc_u32_e32 v15, 0xfffffc10, v15
	v_and_or_b32 v10, 0x8000, v18, v10
	v_lshlrev_b32_e32 v12, v12, v19
	v_bfe_u32 v18, v7, 20, 11
	v_cndmask_b32_e64 v16, 0, 1, vcc_lo
	s_mul_hi_u32 s4, s8, 0x134
	v_lshrrev_b32_e32 v7, 16, v7
	v_cmp_ne_u32_e32 vcc_lo, v12, v20
	v_lshl_or_b32 v20, v10, 16, v13
	v_and_or_b32 v16, 0xffe, v17, v16
	v_sub_nc_u32_e32 v10, 0x3f1, v18
	v_lshl_or_b32 v13, v15, 12, v8
	v_cndmask_b32_e64 v12, 0, 1, vcc_lo
	v_cmp_gt_i32_e32 vcc_lo, 1, v15
	v_or_b32_e32 v17, 0x1000, v16
	v_med3_i32 v10, v10, 0, 13
	s_add_i32 s4, s4, s0
	v_or_b32_e32 v12, v19, v12
	s_mul_i32 s5, s8, 0x134
	v_mul_f64 v[5:6], v[5:6], s[2:3]
	v_cndmask_b32_e32 v12, v13, v12, vcc_lo
	v_mul_f16_sdwa v13, v45, v14 dst_sel:DWORD dst_unused:UNUSED_PAD src0_sel:WORD_1 src1_sel:DWORD
	v_lshrrev_b32_e32 v14, v10, v17
	v_and_b32_e32 v19, 7, v12
	v_fma_f16 v11, v45, v11, -v13
	v_lshlrev_b32_e32 v10, v10, v14
	v_lshrrev_b32_e32 v12, 2, v12
	v_cmp_lt_i32_e32 vcc_lo, 5, v19
	v_cmp_eq_u32_e64 s0, 3, v19
	v_cmp_ne_u32_e64 s1, v10, v17
	v_cvt_f32_f16_e32 v11, v11
	v_add_nc_u32_e32 v17, 0xfffffc10, v18
	s_or_b32 vcc_lo, s0, vcc_lo
	v_cndmask_b32_e64 v13, 0, 1, s1
	v_add_co_ci_u32_e32 v18, vcc_lo, 0, v12, vcc_lo
	v_cmp_ne_u32_e32 vcc_lo, 0, v8
	v_cvt_f64_f32_e32 v[10:11], v11
	v_or_b32_e32 v12, v14, v13
	v_lshl_or_b32 v13, v17, 12, v16
	v_and_or_b32 v5, 0x1ff, v6, v5
	v_cndmask_b32_e64 v8, 0, 1, vcc_lo
	v_cmp_gt_i32_e32 vcc_lo, 1, v17
	v_bfe_u32 v19, v6, 20, 11
	v_lshl_or_b32 v8, v8, 9, 0x7c00
	v_cndmask_b32_e32 v14, v13, v12, vcc_lo
	v_cmp_ne_u32_e32 vcc_lo, 0, v5
	ds_read2_b32 v[12:13], v2 offset0:52 offset1:129
	v_lshrrev_b32_e32 v5, 8, v6
	v_and_b32_e32 v21, 7, v14
	v_cndmask_b32_e64 v2, 0, 1, vcc_lo
	v_cmp_gt_i32_e32 vcc_lo, 31, v15
	v_cmp_eq_u32_e64 s0, 3, v21
	v_and_or_b32 v22, 0xffe, v5, v2
	v_cndmask_b32_e32 v18, 0x7c00, v18, vcc_lo
	v_cmp_eq_u32_e32 vcc_lo, 0x40f, v15
	v_mul_f64 v[10:11], v[10:11], s[2:3]
	v_sub_nc_u32_e32 v2, 0x3f1, v19
	v_cndmask_b32_e32 v5, v18, v8, vcc_lo
	v_lshrrev_b32_e32 v8, 16, v9
	v_cmp_lt_i32_e32 vcc_lo, 5, v21
	v_or_b32_e32 v9, 0x1000, v22
	v_med3_i32 v2, v2, 0, 13
	v_and_or_b32 v5, 0x8000, v8, v5
	v_lshrrev_b32_e32 v8, 2, v14
	s_or_b32 vcc_lo, s0, vcc_lo
	s_waitcnt lgkmcnt(0)
	v_lshrrev_b32_e32 v14, 16, v12
	v_lshrrev_b32_e32 v15, v2, v9
	v_add_co_ci_u32_e32 v8, vcc_lo, 0, v8, vcc_lo
	v_cmp_ne_u32_e32 vcc_lo, 0, v16
	v_mul_f16_sdwa v18, v44, v14 dst_sel:DWORD dst_unused:UNUSED_PAD src0_sel:WORD_1 src1_sel:DWORD
	v_lshlrev_b32_e32 v2, v2, v15
	v_bfe_u32 v23, v11, 20, 11
	v_cndmask_b32_e64 v16, 0, 1, vcc_lo
	v_cmp_gt_i32_e32 vcc_lo, 31, v17
	v_fmac_f16_e32 v18, v44, v12
	v_mul_f16_sdwa v12, v44, v12 dst_sel:DWORD dst_unused:UNUSED_PAD src0_sel:WORD_1 src1_sel:DWORD
	v_lshl_or_b32 v16, v16, 9, 0x7c00
	v_cndmask_b32_e32 v21, 0x7c00, v8, vcc_lo
	v_and_or_b32 v8, 0x1ff, v11, v10
	v_cmp_ne_u32_e32 vcc_lo, v2, v9
	v_cvt_f32_f16_e32 v9, v18
	v_add_nc_u32_e32 v10, 0xfffffc10, v19
	v_lshrrev_b32_e32 v19, 8, v11
	v_lshrrev_b32_e32 v11, 16, v11
	v_cndmask_b32_e64 v2, 0, 1, vcc_lo
	v_cmp_ne_u32_e32 vcc_lo, 0, v8
	v_cvt_f64_f32_e32 v[8:9], v9
	v_or_b32_e32 v2, v15, v2
	v_cndmask_b32_e64 v18, 0, 1, vcc_lo
	v_cmp_eq_u32_e32 vcc_lo, 0x40f, v17
	v_lshl_or_b32 v15, v10, 12, v22
	v_and_or_b32 v17, 0xffe, v19, v18
	v_sub_nc_u32_e32 v18, 0x3f1, v23
	v_cndmask_b32_e32 v16, v21, v16, vcc_lo
	v_cmp_gt_i32_e32 vcc_lo, 1, v10
	v_and_b32_e32 v21, 0xffff, v5
	v_or_b32_e32 v19, 0x1000, v17
	v_med3_i32 v18, v18, 0, 13
	v_and_or_b32 v7, 0x8000, v7, v16
	v_cndmask_b32_e32 v15, v15, v2, vcc_lo
	v_add_co_u32 v2, vcc_lo, v3, s5
	v_lshrrev_b32_e32 v16, v18, v19
	v_add_co_ci_u32_e32 v3, vcc_lo, s4, v4, vcc_lo
	v_mul_f64 v[4:5], v[8:9], s[2:3]
	v_and_b32_e32 v24, 7, v15
	v_lshlrev_b32_e32 v8, v18, v16
	v_lshl_or_b32 v18, v7, 16, v21
	v_fma_f16 v7, v44, v14, -v12
	v_lshrrev_b32_e32 v12, 2, v15
	v_cmp_lt_i32_e32 vcc_lo, 5, v24
	v_cmp_ne_u32_e64 s0, v8, v19
	v_add_nc_u32_e32 v9, 0xfffffc10, v23
	v_cvt_f32_f16_e32 v7, v7
	global_store_dword v[2:3], v20, off
	v_cndmask_b32_e64 v8, 0, 1, s0
	v_cmp_eq_u32_e64 s0, 3, v24
	v_lshl_or_b32 v15, v9, 12, v17
	v_or_b32_e32 v14, v16, v8
	s_or_b32 vcc_lo, s0, vcc_lo
	v_cvt_f64_f32_e32 v[7:8], v7
	v_add_co_ci_u32_e32 v12, vcc_lo, 0, v12, vcc_lo
	v_cmp_ne_u32_e32 vcc_lo, 0, v22
	v_and_or_b32 v4, 0x1ff, v5, v4
	v_lshrrev_b32_e32 v19, 8, v5
	v_bfe_u32 v20, v5, 20, 11
	v_cndmask_b32_e64 v16, 0, 1, vcc_lo
	v_cmp_gt_i32_e32 vcc_lo, 1, v9
	v_cndmask_b32_e32 v14, v15, v14, vcc_lo
	v_cmp_gt_i32_e32 vcc_lo, 31, v10
	v_lshl_or_b32 v15, v16, 9, 0x7c00
	v_and_b32_e32 v16, 7, v14
	v_cndmask_b32_e32 v12, 0x7c00, v12, vcc_lo
	v_cmp_ne_u32_e32 vcc_lo, 0, v4
	v_cmp_eq_u32_e64 s0, 3, v16
	v_cndmask_b32_e64 v4, 0, 1, vcc_lo
	v_cmp_eq_u32_e32 vcc_lo, 0x40f, v10
	v_and_or_b32 v4, 0xffe, v19, v4
	v_cndmask_b32_e32 v10, v12, v15, vcc_lo
	v_cmp_lt_i32_e32 vcc_lo, 5, v16
	v_lshrrev_b32_e32 v12, 16, v6
	v_mul_f64 v[6:7], v[7:8], s[2:3]
	v_lshrrev_b32_e32 v8, 2, v14
	v_sub_nc_u32_e32 v15, 0x3f1, v20
	s_or_b32 vcc_lo, s0, vcc_lo
	v_or_b32_e32 v14, 0x1000, v4
	v_lshrrev_b32_e32 v16, 16, v13
	v_add_co_ci_u32_e32 v8, vcc_lo, 0, v8, vcc_lo
	v_med3_i32 v15, v15, 0, 13
	v_cmp_ne_u32_e32 vcc_lo, 0, v17
	v_mul_f16_sdwa v21, v43, v16 dst_sel:DWORD dst_unused:UNUSED_PAD src0_sel:WORD_1 src1_sel:DWORD
	v_and_or_b32 v10, 0x8000, v12, v10
	v_lshrrev_b32_e32 v19, v15, v14
	v_cndmask_b32_e64 v17, 0, 1, vcc_lo
	v_cmp_gt_i32_e32 vcc_lo, 31, v9
	v_fmac_f16_e32 v21, v43, v13
	v_and_b32_e32 v10, 0xffff, v10
	v_lshlrev_b32_e32 v12, v15, v19
	v_lshl_or_b32 v17, v17, 9, 0x7c00
	v_cndmask_b32_e32 v8, 0x7c00, v8, vcc_lo
	v_cmp_eq_u32_e32 vcc_lo, 0x40f, v9
	v_and_or_b32 v6, 0x1ff, v7, v6
	v_mul_f16_sdwa v13, v43, v13 dst_sel:DWORD dst_unused:UNUSED_PAD src0_sel:WORD_1 src1_sel:DWORD
	v_cndmask_b32_e32 v15, v8, v17, vcc_lo
	v_cmp_ne_u32_e32 vcc_lo, v12, v14
	v_cvt_f32_f16_e32 v8, v21
	v_add_nc_u32_e32 v17, 0xfffffc10, v20
	v_lshrrev_b32_e32 v14, 8, v7
	v_bfe_u32 v20, v7, 20, 11
	v_cndmask_b32_e64 v12, 0, 1, vcc_lo
	v_cmp_ne_u32_e32 vcc_lo, 0, v6
	v_cvt_f64_f32_e32 v[8:9], v8
	v_and_or_b32 v11, 0x8000, v11, v15
	v_lshl_or_b32 v15, v17, 12, v4
	v_or_b32_e32 v12, v19, v12
	v_cndmask_b32_e64 v6, 0, 1, vcc_lo
	v_cmp_gt_i32_e32 vcc_lo, 1, v17
	v_lshl_or_b32 v19, v11, 16, v10
	v_fma_f16 v13, v43, v16, -v13
	v_add_nc_u32_e32 v16, 0xfffffc10, v20
	v_and_or_b32 v6, 0xffe, v14, v6
	v_sub_nc_u32_e32 v14, 0x3f1, v20
	v_cndmask_b32_e32 v12, v15, v12, vcc_lo
	v_add_co_u32 v2, vcc_lo, v2, s5
	v_or_b32_e32 v15, 0x1000, v6
	v_med3_i32 v14, v14, 0, 13
	v_add_co_ci_u32_e32 v3, vcc_lo, s4, v3, vcc_lo
	v_and_b32_e32 v21, 7, v12
	v_add_co_u32 v10, vcc_lo, v2, s5
	v_lshrrev_b32_e32 v22, v14, v15
	v_mul_f64 v[8:9], v[8:9], s[2:3]
	v_add_co_ci_u32_e32 v11, vcc_lo, s4, v3, vcc_lo
	v_cmp_lt_i32_e32 vcc_lo, 5, v21
	v_lshlrev_b32_e32 v14, v14, v22
	v_cmp_eq_u32_e64 s0, 3, v21
	v_lshrrev_b32_e32 v12, 2, v12
	v_cvt_f32_f16_e32 v13, v13
	v_cmp_ne_u32_e64 s1, v14, v15
	s_or_b32 vcc_lo, s0, vcc_lo
	v_add_co_ci_u32_e32 v20, vcc_lo, 0, v12, vcc_lo
	v_cndmask_b32_e64 v14, 0, 1, s1
	v_cmp_ne_u32_e32 vcc_lo, 0, v4
	v_cvt_f64_f32_e32 v[12:13], v13
	v_or_b32_e32 v21, v22, v14
	v_lshl_or_b32 v22, v16, 12, v6
	ds_read2_b32 v[14:15], v1 offset0:78 offset1:155
	v_cndmask_b32_e64 v1, 0, 1, vcc_lo
	v_cmp_gt_i32_e32 vcc_lo, 1, v16
	v_and_or_b32 v4, 0x1ff, v9, v8
	v_bfe_u32 v23, v9, 20, 11
	global_store_dword v[2:3], v18, off
	global_store_dword v[10:11], v19, off
	v_lshl_or_b32 v1, v1, 9, 0x7c00
	v_cndmask_b32_e32 v21, v22, v21, vcc_lo
	v_cmp_gt_i32_e32 vcc_lo, 31, v17
	v_lshrrev_b32_e32 v22, 8, v9
	v_cndmask_b32_e32 v8, 0x7c00, v20, vcc_lo
	v_cmp_ne_u32_e32 vcc_lo, 0, v4
	v_and_b32_e32 v20, 7, v21
	v_cndmask_b32_e64 v4, 0, 1, vcc_lo
	v_cmp_eq_u32_e32 vcc_lo, 0x40f, v17
	v_cmp_eq_u32_e64 s0, 3, v20
	v_and_or_b32 v17, 0xffe, v22, v4
	v_cndmask_b32_e32 v1, v8, v1, vcc_lo
	v_cmp_lt_i32_e32 vcc_lo, 5, v20
	v_lshrrev_b32_e32 v8, 16, v5
	v_mul_f64 v[4:5], v[12:13], s[2:3]
	v_lshrrev_b32_e32 v13, 2, v21
	v_sub_nc_u32_e32 v22, 0x3f1, v23
	s_or_b32 vcc_lo, s0, vcc_lo
	v_or_b32_e32 v20, 0x1000, v17
	s_waitcnt lgkmcnt(0)
	v_lshrrev_b32_e32 v12, 16, v14
	v_add_co_ci_u32_e32 v13, vcc_lo, 0, v13, vcc_lo
	v_med3_i32 v21, v22, 0, 13
	v_cmp_ne_u32_e32 vcc_lo, 0, v6
	v_mul_f16_sdwa v22, v42, v12 dst_sel:DWORD dst_unused:UNUSED_PAD src0_sel:WORD_1 src1_sel:DWORD
	v_and_or_b32 v1, 0x8000, v8, v1
	v_lshrrev_b32_e32 v24, v21, v20
	v_cndmask_b32_e64 v6, 0, 1, vcc_lo
	v_cmp_gt_i32_e32 vcc_lo, 31, v16
	v_fmac_f16_e32 v22, v42, v14
	v_and_b32_e32 v1, 0xffff, v1
	v_lshlrev_b32_e32 v8, v21, v24
	v_lshl_or_b32 v6, v6, 9, 0x7c00
	v_cndmask_b32_e32 v13, 0x7c00, v13, vcc_lo
	v_cmp_eq_u32_e32 vcc_lo, 0x40f, v16
	v_and_or_b32 v4, 0x1ff, v5, v4
	v_cvt_f32_f16_e32 v21, v22
	v_lshrrev_b32_e32 v16, 16, v7
	v_bfe_u32 v22, v5, 20, 11
	v_cndmask_b32_e32 v13, v13, v6, vcc_lo
	v_cmp_ne_u32_e32 vcc_lo, v8, v20
	v_cvt_f64_f32_e32 v[6:7], v21
	v_add_nc_u32_e32 v20, 0xfffffc10, v23
	v_lshrrev_b32_e32 v21, 8, v5
	v_and_or_b32 v13, 0x8000, v16, v13
	v_cndmask_b32_e64 v8, 0, 1, vcc_lo
	v_cmp_ne_u32_e32 vcc_lo, 0, v4
	v_lshl_or_b32 v16, v20, 12, v17
	v_lshrrev_b32_e32 v5, 16, v5
	v_lshl_or_b32 v13, v13, 16, v1
	v_or_b32_e32 v8, v24, v8
	v_cndmask_b32_e64 v4, 0, 1, vcc_lo
	v_cmp_gt_i32_e32 vcc_lo, 1, v20
	v_and_or_b32 v21, 0xffe, v21, v4
	v_sub_nc_u32_e32 v4, 0x3f1, v22
	v_cndmask_b32_e32 v8, v16, v8, vcc_lo
	v_add_co_u32 v3, vcc_lo, v10, s5
	v_or_b32_e32 v16, 0x1000, v21
	v_med3_i32 v23, v4, 0, 13
	v_and_b32_e32 v18, 7, v8
	v_mul_f64 v[1:2], v[6:7], s[2:3]
	v_add_co_ci_u32_e32 v4, vcc_lo, s4, v11, vcc_lo
	v_lshrrev_b32_e32 v19, v23, v16
	v_cmp_lt_i32_e32 vcc_lo, 5, v18
	v_cmp_eq_u32_e64 s0, 3, v18
	v_mul_f16_sdwa v7, v42, v14 dst_sel:DWORD dst_unused:UNUSED_PAD src0_sel:WORD_1 src1_sel:DWORD
	v_lshrrev_b32_e32 v8, 2, v8
	v_lshlrev_b32_e32 v6, v23, v19
	v_add_nc_u32_e32 v10, 0xfffffc10, v22
	s_or_b32 vcc_lo, s0, vcc_lo
	v_fma_f16 v7, v42, v12, -v7
	v_add_co_ci_u32_e32 v8, vcc_lo, 0, v8, vcc_lo
	v_cmp_ne_u32_e64 s1, v6, v16
	v_cmp_ne_u32_e32 vcc_lo, 0, v17
	v_cvt_f32_f16_e32 v7, v7
	v_lshl_or_b32 v12, v10, 12, v21
	global_store_dword v[3:4], v13, off
	v_cndmask_b32_e64 v6, 0, 1, s1
	v_cndmask_b32_e64 v14, 0, 1, vcc_lo
	v_cmp_gt_i32_e32 vcc_lo, 1, v10
	v_and_or_b32 v1, 0x1ff, v2, v1
	v_lshrrev_b32_e32 v16, 8, v2
	v_or_b32_e32 v11, v19, v6
	v_cvt_f64_f32_e32 v[6:7], v7
	v_bfe_u32 v17, v2, 20, 11
	v_lshrrev_b32_e32 v2, 16, v2
	v_cndmask_b32_e32 v11, v12, v11, vcc_lo
	v_cmp_gt_i32_e32 vcc_lo, 31, v20
	v_lshl_or_b32 v12, v14, 9, 0x7c00
	v_and_b32_e32 v14, 7, v11
	v_cndmask_b32_e32 v8, 0x7c00, v8, vcc_lo
	v_cmp_ne_u32_e32 vcc_lo, 0, v1
	v_cmp_eq_u32_e64 s0, 3, v14
	v_cndmask_b32_e64 v1, 0, 1, vcc_lo
	v_cmp_eq_u32_e32 vcc_lo, 0x40f, v20
	v_and_or_b32 v16, 0xffe, v16, v1
	v_cndmask_b32_e32 v12, v8, v12, vcc_lo
	v_cmp_lt_i32_e32 vcc_lo, 5, v14
	v_lshrrev_b32_e32 v8, 2, v11
	v_lshrrev_b32_e32 v14, 16, v15
	v_mul_f64 v[6:7], v[6:7], s[2:3]
	v_sub_nc_u32_e32 v1, 0x3f1, v17
	s_or_b32 vcc_lo, s0, vcc_lo
	v_or_b32_e32 v11, 0x1000, v16
	v_add_co_ci_u32_e32 v8, vcc_lo, 0, v8, vcc_lo
	v_mul_f16_sdwa v18, v41, v14 dst_sel:DWORD dst_unused:UNUSED_PAD src0_sel:WORD_1 src1_sel:DWORD
	v_cmp_ne_u32_e32 vcc_lo, 0, v21
	v_med3_i32 v1, v1, 0, 13
	v_lshrrev_b32_e32 v21, 16, v9
	v_fmac_f16_e32 v18, v41, v15
	v_cndmask_b32_e64 v19, 0, 1, vcc_lo
	v_cmp_gt_i32_e32 vcc_lo, 31, v10
	v_lshrrev_b32_e32 v20, v1, v11
	v_and_or_b32 v12, 0x8000, v21, v12
	v_cvt_f32_f16_e32 v9, v18
	v_lshl_or_b32 v19, v19, 9, 0x7c00
	v_cndmask_b32_e32 v8, 0x7c00, v8, vcc_lo
	v_cmp_eq_u32_e32 vcc_lo, 0x40f, v10
	v_lshlrev_b32_e32 v1, v1, v20
	v_and_b32_e32 v12, 0xffff, v12
	v_and_or_b32 v6, 0x1ff, v7, v6
	v_bfe_u32 v18, v7, 20, 11
	v_cndmask_b32_e32 v10, v8, v19, vcc_lo
	v_cvt_f64_f32_e32 v[8:9], v9
	v_cmp_ne_u32_e32 vcc_lo, v1, v11
	v_add_nc_u32_e32 v11, 0xfffffc10, v17
	v_lshrrev_b32_e32 v17, 8, v7
	v_and_or_b32 v5, 0x8000, v5, v10
	v_cndmask_b32_e64 v1, 0, 1, vcc_lo
	v_cmp_ne_u32_e32 vcc_lo, 0, v6
	v_lshl_or_b32 v10, v11, 12, v16
	v_lshl_or_b32 v12, v5, 16, v12
	v_or_b32_e32 v1, v20, v1
	v_cndmask_b32_e64 v6, 0, 1, vcc_lo
	v_cmp_gt_i32_e32 vcc_lo, 1, v11
	v_and_or_b32 v17, 0xffe, v17, v6
	v_cndmask_b32_e32 v1, v10, v1, vcc_lo
	v_sub_nc_u32_e32 v10, 0x3f1, v18
	v_add_co_u32 v3, vcc_lo, v3, s5
	v_mul_f64 v[5:6], v[8:9], s[2:3]
	v_or_b32_e32 v19, 0x1000, v17
	v_med3_i32 v8, v10, 0, 13
	v_and_b32_e32 v13, 7, v1
	v_add_co_ci_u32_e32 v4, vcc_lo, s4, v4, vcc_lo
	v_lshrrev_b32_e32 v1, 2, v1
	v_lshrrev_b32_e32 v10, v8, v19
	v_cmp_lt_i32_e32 vcc_lo, 5, v13
	v_cmp_eq_u32_e64 s0, 3, v13
	global_store_dword v[3:4], v12, off
	v_mul_f16_sdwa v9, v41, v15 dst_sel:DWORD dst_unused:UNUSED_PAD src0_sel:WORD_1 src1_sel:DWORD
	v_lshlrev_b32_e32 v8, v8, v10
	s_or_b32 vcc_lo, s0, vcc_lo
	v_add_co_ci_u32_e32 v12, vcc_lo, 0, v1, vcc_lo
	v_cmp_ne_u32_e32 vcc_lo, v8, v19
	v_fma_f16 v9, v41, v14, -v9
	ds_read2_b32 v[0:1], v0 offset0:104 offset1:181
	v_add_nc_u32_e32 v14, 0xfffffc10, v18
	v_and_or_b32 v5, 0x1ff, v6, v5
	v_cndmask_b32_e64 v13, 0, 1, vcc_lo
	v_cmp_gt_i32_e32 vcc_lo, 31, v11
	v_cvt_f32_f16_e32 v8, v9
	v_lshrrev_b32_e32 v15, 8, v6
	v_bfe_u32 v18, v6, 20, 11
	v_or_b32_e32 v10, v10, v13
	v_cndmask_b32_e32 v12, 0x7c00, v12, vcc_lo
	v_cmp_ne_u32_e32 vcc_lo, 0, v5
	v_cvt_f64_f32_e32 v[8:9], v8
	v_lshl_or_b32 v13, v14, 12, v17
	v_cndmask_b32_e64 v5, 0, 1, vcc_lo
	v_cmp_ne_u32_e32 vcc_lo, 0, v16
	v_and_or_b32 v5, 0xffe, v15, v5
	v_cndmask_b32_e64 v16, 0, 1, vcc_lo
	v_cmp_gt_i32_e32 vcc_lo, 1, v14
	s_waitcnt lgkmcnt(0)
	v_lshrrev_b32_e32 v15, 16, v0
	v_lshrrev_b32_e32 v22, 16, v1
	v_or_b32_e32 v20, 0x1000, v5
	v_lshl_or_b32 v16, v16, 9, 0x7c00
	v_cndmask_b32_e32 v10, v13, v10, vcc_lo
	v_sub_nc_u32_e32 v13, 0x3f1, v18
	v_cmp_eq_u32_e32 vcc_lo, 0x40f, v11
	v_mul_f16_sdwa v21, v40, v15 dst_sel:DWORD dst_unused:UNUSED_PAD src0_sel:WORD_1 src1_sel:DWORD
	v_add_nc_u32_e32 v18, 0xfffffc10, v18
	v_and_b32_e32 v19, 7, v10
	v_med3_i32 v13, v13, 0, 13
	v_cndmask_b32_e32 v12, v12, v16, vcc_lo
	v_lshrrev_b32_e32 v10, 2, v10
	v_mul_f64 v[8:9], v[8:9], s[2:3]
	v_cmp_lt_i32_e32 vcc_lo, 5, v19
	v_cmp_eq_u32_e64 s0, 3, v19
	v_lshrrev_b32_e32 v16, v13, v20
	v_fmac_f16_e32 v21, v40, v0
	v_and_or_b32 v2, 0x8000, v2, v12
	v_mul_f16_sdwa v0, v40, v0 dst_sel:DWORD dst_unused:UNUSED_PAD src0_sel:WORD_1 src1_sel:DWORD
	s_or_b32 vcc_lo, s0, vcc_lo
	v_lshlrev_b32_e32 v13, v13, v16
	v_add_co_ci_u32_e32 v19, vcc_lo, 0, v10, vcc_lo
	v_cmp_ne_u32_e32 vcc_lo, 0, v17
	v_cvt_f32_f16_e32 v11, v21
	v_and_b32_e32 v2, 0xffff, v2
	v_fma_f16 v0, v40, v15, -v0
	v_cndmask_b32_e64 v17, 0, 1, vcc_lo
	v_cmp_ne_u32_e32 vcc_lo, v13, v20
	v_cvt_f64_f32_e32 v[10:11], v11
	v_lshrrev_b32_e32 v20, 16, v7
	v_cvt_f32_f16_e32 v0, v0
	v_lshl_or_b32 v17, v17, 9, 0x7c00
	v_cndmask_b32_e64 v13, 0, 1, vcc_lo
	v_cmp_gt_i32_e32 vcc_lo, 31, v14
	v_and_or_b32 v8, 0x1ff, v9, v8
	v_or_b32_e32 v13, v16, v13
	v_cndmask_b32_e32 v19, 0x7c00, v19, vcc_lo
	v_cmp_eq_u32_e32 vcc_lo, 0x40f, v14
	v_lshl_or_b32 v16, v18, 12, v5
	v_cndmask_b32_e32 v14, v19, v17, vcc_lo
	v_cmp_gt_i32_e32 vcc_lo, 1, v18
	v_lshrrev_b32_e32 v17, 8, v9
	v_bfe_u32 v19, v9, 20, 11
	v_lshrrev_b32_e32 v9, 16, v9
	v_cndmask_b32_e32 v13, v16, v13, vcc_lo
	v_cmp_ne_u32_e32 vcc_lo, 0, v8
	v_mul_f64 v[7:8], v[10:11], s[2:3]
	v_sub_nc_u32_e32 v10, 0x3f1, v19
	v_and_or_b32 v11, 0x8000, v20, v14
	v_and_b32_e32 v21, 7, v13
	v_cndmask_b32_e64 v16, 0, 1, vcc_lo
	v_lshrrev_b32_e32 v13, 2, v13
	v_med3_i32 v10, v10, 0, 13
	v_lshl_or_b32 v15, v11, 16, v2
	v_cmp_lt_i32_e32 vcc_lo, 5, v21
	v_and_or_b32 v16, 0xffe, v17, v16
	v_cmp_eq_u32_e64 s0, 3, v21
	v_or_b32_e32 v12, 0x1000, v16
	s_or_b32 vcc_lo, s0, vcc_lo
	v_add_co_ci_u32_e32 v13, vcc_lo, 0, v13, vcc_lo
	v_lshrrev_b32_e32 v14, v10, v12
	v_cmp_gt_i32_e32 vcc_lo, 31, v18
	v_and_or_b32 v7, 0x1ff, v8, v7
	v_bfe_u32 v17, v8, 20, 11
	v_lshlrev_b32_e32 v2, v10, v14
	v_cndmask_b32_e32 v13, 0x7c00, v13, vcc_lo
	v_cvt_f64_f32_e32 v[10:11], v0
	v_add_nc_u32_e32 v0, 0xfffffc10, v19
	v_cmp_ne_u32_e32 vcc_lo, v2, v12
	v_lshrrev_b32_e32 v12, 8, v8
	v_cndmask_b32_e64 v2, 0, 1, vcc_lo
	v_cmp_ne_u32_e32 vcc_lo, 0, v7
	v_or_b32_e32 v2, v14, v2
	v_cndmask_b32_e64 v7, 0, 1, vcc_lo
	v_cmp_ne_u32_e32 vcc_lo, 0, v5
	v_lshl_or_b32 v14, v0, 12, v16
	v_and_or_b32 v7, 0xffe, v12, v7
	v_cndmask_b32_e64 v5, 0, 1, vcc_lo
	v_cmp_gt_i32_e32 vcc_lo, 1, v0
	v_sub_nc_u32_e32 v12, 0x3f1, v17
	v_or_b32_e32 v19, 0x1000, v7
	v_lshl_or_b32 v5, v5, 9, 0x7c00
	v_cndmask_b32_e32 v14, v14, v2, vcc_lo
	v_cmp_eq_u32_e32 vcc_lo, 0x40f, v18
	v_med3_i32 v12, v12, 0, 13
	v_lshrrev_b32_e32 v18, 16, v6
	v_and_b32_e32 v20, 7, v14
	v_cndmask_b32_e32 v13, v13, v5, vcc_lo
	v_mul_f64 v[5:6], v[10:11], s[2:3]
	v_lshrrev_b32_e32 v21, v12, v19
	v_add_co_u32 v2, vcc_lo, v3, s5
	v_add_co_ci_u32_e32 v3, vcc_lo, s4, v4, vcc_lo
	v_mul_f16_sdwa v4, v38, v22 dst_sel:DWORD dst_unused:UNUSED_PAD src0_sel:WORD_1 src1_sel:DWORD
	v_lshlrev_b32_e32 v10, v12, v21
	v_cmp_lt_i32_e32 vcc_lo, 5, v20
	v_cmp_eq_u32_e64 s0, 3, v20
	v_lshrrev_b32_e32 v11, 2, v14
	v_fmac_f16_e32 v4, v38, v1
	v_cmp_ne_u32_e64 s1, v10, v19
	v_add_nc_u32_e32 v12, 0xfffffc10, v17
	s_or_b32 vcc_lo, s0, vcc_lo
	v_and_or_b32 v13, 0x8000, v18, v13
	v_add_co_ci_u32_e32 v14, vcc_lo, 0, v11, vcc_lo
	v_cndmask_b32_e64 v10, 0, 1, s1
	v_cvt_f32_f16_e32 v4, v4
	v_cmp_ne_u32_e32 vcc_lo, 0, v16
	v_mul_f16_sdwa v1, v38, v1 dst_sel:DWORD dst_unused:UNUSED_PAD src0_sel:WORD_1 src1_sel:DWORD
	v_and_or_b32 v5, 0x1ff, v6, v5
	v_or_b32_e32 v17, v21, v10
	v_cvt_f64_f32_e32 v[10:11], v4
	v_lshl_or_b32 v4, v12, 12, v7
	v_cndmask_b32_e64 v16, 0, 1, vcc_lo
	v_cmp_gt_i32_e32 vcc_lo, 1, v12
	v_bfe_u32 v18, v6, 20, 11
	v_fma_f16 v1, v38, v22, -v1
	v_lshl_or_b32 v16, v16, 9, 0x7c00
	v_cndmask_b32_e32 v17, v4, v17, vcc_lo
	v_cmp_ne_u32_e32 vcc_lo, 0, v5
	v_lshrrev_b32_e32 v5, 8, v6
	v_lshrrev_b32_e32 v6, 16, v6
	v_and_b32_e32 v19, 7, v17
	v_cndmask_b32_e64 v4, 0, 1, vcc_lo
	v_cmp_gt_i32_e32 vcc_lo, 31, v0
	v_cmp_eq_u32_e64 s0, 3, v19
	v_and_or_b32 v20, 0xffe, v5, v4
	v_cndmask_b32_e32 v14, 0x7c00, v14, vcc_lo
	v_cmp_eq_u32_e32 vcc_lo, 0x40f, v0
	v_mul_f64 v[4:5], v[10:11], s[2:3]
	v_and_b32_e32 v11, 0xffff, v13
	v_cndmask_b32_e32 v0, v14, v16, vcc_lo
	v_sub_nc_u32_e32 v14, 0x3f1, v18
	v_cmp_lt_i32_e32 vcc_lo, 5, v19
	v_or_b32_e32 v16, 0x1000, v20
	v_and_or_b32 v0, 0x8000, v9, v0
	v_lshrrev_b32_e32 v9, 2, v17
	v_med3_i32 v10, v14, 0, 13
	s_or_b32 vcc_lo, s0, vcc_lo
	v_lshrrev_b32_e32 v17, 16, v8
	v_lshl_or_b32 v14, v0, 16, v11
	v_add_co_ci_u32_e32 v9, vcc_lo, 0, v9, vcc_lo
	v_lshrrev_b32_e32 v13, v10, v16
	v_cmp_ne_u32_e32 vcc_lo, 0, v7
	ds_read_b32 v11, v39 offset:3080
	v_lshlrev_b32_e32 v0, v10, v13
	v_cndmask_b32_e64 v7, 0, 1, vcc_lo
	v_cmp_gt_i32_e32 vcc_lo, 31, v12
	v_and_or_b32 v4, 0x1ff, v5, v4
	v_lshl_or_b32 v7, v7, 9, 0x7c00
	v_cndmask_b32_e32 v9, 0x7c00, v9, vcc_lo
	v_cmp_ne_u32_e32 vcc_lo, v0, v16
	v_add_nc_u32_e32 v16, 0xfffffc10, v18
	v_cndmask_b32_e64 v0, 0, 1, vcc_lo
	v_cmp_eq_u32_e32 vcc_lo, 0x40f, v12
	v_lshl_or_b32 v10, v16, 12, v20
	v_lshrrev_b32_e32 v12, 8, v5
	v_cndmask_b32_e32 v9, v9, v7, vcc_lo
	v_cmp_ne_u32_e32 vcc_lo, 0, v4
	v_or_b32_e32 v7, v13, v0
	v_cvt_f32_f16_e32 v0, v1
	v_bfe_u32 v13, v5, 20, 11
	v_and_or_b32 v17, 0x8000, v17, v9
	v_cndmask_b32_e64 v4, 0, 1, vcc_lo
	v_cmp_gt_i32_e32 vcc_lo, 1, v16
	v_cvt_f64_f32_e32 v[0:1], v0
	v_lshrrev_b32_e32 v5, 16, v5
	v_and_or_b32 v4, 0xffe, v12, v4
	v_cndmask_b32_e32 v10, v10, v7, vcc_lo
	v_sub_nc_u32_e32 v7, 0x3f1, v13
	s_waitcnt lgkmcnt(0)
	v_lshrrev_b32_e32 v12, 16, v11
	v_add_nc_u32_e32 v13, 0xfffffc10, v13
	v_or_b32_e32 v19, 0x1000, v4
	v_and_b32_e32 v18, 7, v10
	v_med3_i32 v21, v7, 0, 13
	v_mul_f16_sdwa v22, v37, v12 dst_sel:DWORD dst_unused:UNUSED_PAD src0_sel:WORD_1 src1_sel:DWORD
	v_add_co_u32 v7, vcc_lo, v2, s5
	v_add_co_ci_u32_e32 v8, vcc_lo, s4, v3, vcc_lo
	v_lshrrev_b32_e32 v23, v21, v19
	v_fmac_f16_e32 v22, v37, v11
	v_cmp_lt_i32_e32 vcc_lo, 5, v18
	v_cmp_eq_u32_e64 s0, 3, v18
	v_lshrrev_b32_e32 v9, 2, v10
	v_lshlrev_b32_e32 v18, v21, v23
	v_cvt_f32_f16_e32 v10, v22
	v_mul_f64 v[0:1], v[0:1], s[2:3]
	s_or_b32 vcc_lo, s0, vcc_lo
	v_mul_f16_sdwa v11, v37, v11 dst_sel:DWORD dst_unused:UNUSED_PAD src0_sel:WORD_1 src1_sel:DWORD
	v_add_co_ci_u32_e32 v21, vcc_lo, 0, v9, vcc_lo
	v_cmp_ne_u32_e32 vcc_lo, v18, v19
	v_cvt_f64_f32_e32 v[9:10], v10
	v_fma_f16 v11, v37, v12, -v11
	v_cndmask_b32_e64 v18, 0, 1, vcc_lo
	v_cmp_ne_u32_e32 vcc_lo, 0, v20
	v_lshl_or_b32 v20, v13, 12, v4
	v_cvt_f32_f16_e32 v11, v11
	v_or_b32_e32 v18, v23, v18
	v_cndmask_b32_e64 v19, 0, 1, vcc_lo
	v_cmp_gt_i32_e32 vcc_lo, 31, v16
	v_lshl_or_b32 v19, v19, 9, 0x7c00
	v_cndmask_b32_e32 v12, 0x7c00, v21, vcc_lo
	v_cmp_gt_i32_e32 vcc_lo, 1, v13
	v_and_or_b32 v0, 0x1ff, v1, v0
	v_bfe_u32 v21, v1, 20, 11
	v_cndmask_b32_e32 v18, v20, v18, vcc_lo
	v_cmp_eq_u32_e32 vcc_lo, 0x40f, v16
	v_mul_f64 v[9:10], v[9:10], s[2:3]
	v_lshrrev_b32_e32 v20, 8, v1
	v_lshrrev_b32_e32 v1, 16, v1
	v_cndmask_b32_e32 v16, v12, v19, vcc_lo
	v_cvt_f64_f32_e32 v[11:12], v11
	v_cmp_ne_u32_e32 vcc_lo, 0, v0
	v_and_b32_e32 v19, 7, v18
	v_and_or_b32 v6, 0x8000, v6, v16
	v_and_b32_e32 v16, 0xffff, v17
	v_cndmask_b32_e64 v0, 0, 1, vcc_lo
	v_cmp_lt_i32_e32 vcc_lo, 5, v19
	v_cmp_eq_u32_e64 s0, 3, v19
	v_sub_nc_u32_e32 v17, 0x3f1, v21
	v_lshl_or_b32 v6, v6, 16, v16
	v_lshrrev_b32_e32 v16, 2, v18
	v_and_or_b32 v0, 0xffe, v20, v0
	s_or_b32 vcc_lo, s0, vcc_lo
	v_med3_i32 v17, v17, 0, 13
	v_add_co_ci_u32_e32 v16, vcc_lo, 0, v16, vcc_lo
	v_or_b32_e32 v18, 0x1000, v0
	v_cmp_ne_u32_e32 vcc_lo, 0, v4
	v_and_or_b32 v9, 0x1ff, v10, v9
	v_lshrrev_b32_e32 v20, 8, v10
	v_mul_f64 v[11:12], v[11:12], s[2:3]
	v_lshrrev_b32_e32 v19, v17, v18
	v_cndmask_b32_e64 v4, 0, 1, vcc_lo
	v_cmp_gt_i32_e32 vcc_lo, 31, v13
	v_bfe_u32 v22, v10, 20, 11
	v_lshrrev_b32_e32 v10, 16, v10
	v_lshlrev_b32_e32 v17, v17, v19
	v_lshl_or_b32 v4, v4, 9, 0x7c00
	v_cndmask_b32_e32 v16, 0x7c00, v16, vcc_lo
	v_cmp_ne_u32_e32 vcc_lo, 0, v9
	v_cndmask_b32_e64 v9, 0, 1, vcc_lo
	v_cmp_ne_u32_e32 vcc_lo, v17, v18
	v_add_nc_u32_e32 v18, 0xfffffc10, v21
	v_and_or_b32 v9, 0xffe, v20, v9
	v_cndmask_b32_e64 v17, 0, 1, vcc_lo
	v_sub_nc_u32_e32 v20, 0x3f1, v22
	v_cmp_eq_u32_e32 vcc_lo, 0x40f, v13
	v_and_or_b32 v11, 0x1ff, v12, v11
	v_bfe_u32 v21, v12, 20, 11
	v_or_b32_e32 v13, v19, v17
	v_or_b32_e32 v17, 0x1000, v9
	v_cndmask_b32_e32 v4, v16, v4, vcc_lo
	v_lshl_or_b32 v16, v18, 12, v0
	v_med3_i32 v19, v20, 0, 13
	v_cmp_gt_i32_e32 vcc_lo, 1, v18
	v_lshrrev_b32_e32 v20, 8, v12
	v_and_or_b32 v4, 0x8000, v5, v4
	v_cndmask_b32_e32 v13, v16, v13, vcc_lo
	v_lshrrev_b32_e32 v16, v19, v17
	v_cmp_ne_u32_e32 vcc_lo, 0, v11
	v_and_b32_e32 v4, 0xffff, v4
	v_and_b32_e32 v23, 7, v13
	v_lshlrev_b32_e32 v19, v19, v16
	v_cndmask_b32_e64 v11, 0, 1, vcc_lo
	v_lshrrev_b32_e32 v13, 2, v13
	v_cmp_lt_i32_e32 vcc_lo, 5, v23
	v_cmp_ne_u32_e64 s0, v19, v17
	v_and_or_b32 v5, 0xffe, v20, v11
	v_sub_nc_u32_e32 v11, 0x3f1, v21
	v_add_nc_u32_e32 v20, 0xfffffc10, v22
	v_cndmask_b32_e64 v17, 0, 1, s0
	v_cmp_eq_u32_e64 s0, 3, v23
	v_or_b32_e32 v19, 0x1000, v5
	v_med3_i32 v11, v11, 0, 13
	v_lshl_or_b32 v22, v20, 12, v9
	v_or_b32_e32 v16, v16, v17
	s_or_b32 vcc_lo, s0, vcc_lo
	v_add_co_ci_u32_e32 v13, vcc_lo, 0, v13, vcc_lo
	v_lshrrev_b32_e32 v17, v11, v19
	v_cmp_gt_i32_e32 vcc_lo, 1, v20
	v_lshlrev_b32_e32 v11, v11, v17
	v_cndmask_b32_e32 v16, v22, v16, vcc_lo
	v_cmp_ne_u32_e32 vcc_lo, 0, v0
	v_cndmask_b32_e64 v0, 0, 1, vcc_lo
	v_cmp_ne_u32_e32 vcc_lo, v11, v19
	v_add_nc_u32_e32 v19, 0xfffffc10, v21
	v_and_b32_e32 v21, 7, v16
	v_lshl_or_b32 v0, v0, 9, 0x7c00
	v_cndmask_b32_e64 v11, 0, 1, vcc_lo
	v_cmp_gt_i32_e32 vcc_lo, 31, v18
	v_cmp_gt_i32_e64 s1, 1, v19
	v_cmp_eq_u32_e64 s0, 3, v21
	v_or_b32_e32 v11, v17, v11
	v_lshl_or_b32 v17, v19, 12, v5
	v_cndmask_b32_e32 v13, 0x7c00, v13, vcc_lo
	v_cmp_lt_i32_e32 vcc_lo, 5, v21
	v_cndmask_b32_e64 v11, v17, v11, s1
	v_cmp_eq_u32_e64 s1, 0x40f, v18
	s_or_b32 vcc_lo, s0, vcc_lo
	v_cndmask_b32_e64 v0, v13, v0, s1
	v_lshrrev_b32_e32 v13, 2, v16
	v_and_b32_e32 v16, 7, v11
	v_lshrrev_b32_e32 v11, 2, v11
	v_cmp_gt_i32_e64 s1, 31, v20
	v_add_co_ci_u32_e32 v13, vcc_lo, 0, v13, vcc_lo
	v_cmp_ne_u32_e32 vcc_lo, 0, v9
	v_cmp_eq_u32_e64 s0, 3, v16
	v_cndmask_b32_e64 v13, 0x7c00, v13, s1
	v_cndmask_b32_e64 v9, 0, 1, vcc_lo
	v_cmp_lt_i32_e32 vcc_lo, 5, v16
	v_lshl_or_b32 v9, v9, 9, 0x7c00
	s_or_b32 vcc_lo, s0, vcc_lo
	v_add_co_ci_u32_e32 v11, vcc_lo, 0, v11, vcc_lo
	v_cmp_ne_u32_e32 vcc_lo, 0, v5
	v_cndmask_b32_e64 v5, 0, 1, vcc_lo
	v_cmp_eq_u32_e32 vcc_lo, 0x40f, v20
	v_lshl_or_b32 v5, v5, 9, 0x7c00
	v_cndmask_b32_e32 v9, v13, v9, vcc_lo
	v_cmp_gt_i32_e32 vcc_lo, 31, v19
	v_and_or_b32 v13, 0x8000, v1, v0
	v_and_or_b32 v9, 0x8000, v10, v9
	v_cndmask_b32_e32 v11, 0x7c00, v11, vcc_lo
	v_cmp_eq_u32_e32 vcc_lo, 0x40f, v19
	v_lshrrev_b32_e32 v10, 16, v12
	v_and_b32_e32 v9, 0xffff, v9
	v_cndmask_b32_e32 v5, v11, v5, vcc_lo
	v_add_co_u32 v0, vcc_lo, v7, s5
	v_add_co_ci_u32_e32 v1, vcc_lo, s4, v8, vcc_lo
	v_lshl_or_b32 v11, v13, 16, v4
	v_and_or_b32 v10, 0x8000, v10, v5
	v_add_co_u32 v4, vcc_lo, v0, s5
	v_add_co_ci_u32_e32 v5, vcc_lo, s4, v1, vcc_lo
	v_lshl_or_b32 v12, v10, 16, v9
	v_add_co_u32 v9, vcc_lo, v4, s5
	v_add_co_ci_u32_e32 v10, vcc_lo, s4, v5, vcc_lo
	global_store_dword v[2:3], v15, off
	global_store_dword v[7:8], v14, off
	;; [unrolled: 1-line block ×5, first 2 shown]
.LBB0_10:
	s_endpgm
	.section	.rodata,"a",@progbits
	.p2align	6, 0x0
	.amdhsa_kernel bluestein_single_fwd_len847_dim1_half_op_CI_CI
		.amdhsa_group_segment_fixed_size 10164
		.amdhsa_private_segment_fixed_size 0
		.amdhsa_kernarg_size 104
		.amdhsa_user_sgpr_count 6
		.amdhsa_user_sgpr_private_segment_buffer 1
		.amdhsa_user_sgpr_dispatch_ptr 0
		.amdhsa_user_sgpr_queue_ptr 0
		.amdhsa_user_sgpr_kernarg_segment_ptr 1
		.amdhsa_user_sgpr_dispatch_id 0
		.amdhsa_user_sgpr_flat_scratch_init 0
		.amdhsa_user_sgpr_private_segment_size 0
		.amdhsa_wavefront_size32 1
		.amdhsa_uses_dynamic_stack 0
		.amdhsa_system_sgpr_private_segment_wavefront_offset 0
		.amdhsa_system_sgpr_workgroup_id_x 1
		.amdhsa_system_sgpr_workgroup_id_y 0
		.amdhsa_system_sgpr_workgroup_id_z 0
		.amdhsa_system_sgpr_workgroup_info 0
		.amdhsa_system_vgpr_workitem_id 0
		.amdhsa_next_free_vgpr 174
		.amdhsa_next_free_sgpr 20
		.amdhsa_reserve_vcc 1
		.amdhsa_reserve_flat_scratch 0
		.amdhsa_float_round_mode_32 0
		.amdhsa_float_round_mode_16_64 0
		.amdhsa_float_denorm_mode_32 3
		.amdhsa_float_denorm_mode_16_64 3
		.amdhsa_dx10_clamp 1
		.amdhsa_ieee_mode 1
		.amdhsa_fp16_overflow 0
		.amdhsa_workgroup_processor_mode 1
		.amdhsa_memory_ordered 1
		.amdhsa_forward_progress 0
		.amdhsa_shared_vgpr_count 0
		.amdhsa_exception_fp_ieee_invalid_op 0
		.amdhsa_exception_fp_denorm_src 0
		.amdhsa_exception_fp_ieee_div_zero 0
		.amdhsa_exception_fp_ieee_overflow 0
		.amdhsa_exception_fp_ieee_underflow 0
		.amdhsa_exception_fp_ieee_inexact 0
		.amdhsa_exception_int_div_zero 0
	.end_amdhsa_kernel
	.text
.Lfunc_end0:
	.size	bluestein_single_fwd_len847_dim1_half_op_CI_CI, .Lfunc_end0-bluestein_single_fwd_len847_dim1_half_op_CI_CI
                                        ; -- End function
	.section	.AMDGPU.csdata,"",@progbits
; Kernel info:
; codeLenInByte = 21460
; NumSgprs: 22
; NumVgprs: 174
; ScratchSize: 0
; MemoryBound: 0
; FloatMode: 240
; IeeeMode: 1
; LDSByteSize: 10164 bytes/workgroup (compile time only)
; SGPRBlocks: 2
; VGPRBlocks: 21
; NumSGPRsForWavesPerEU: 22
; NumVGPRsForWavesPerEU: 174
; Occupancy: 5
; WaveLimiterHint : 1
; COMPUTE_PGM_RSRC2:SCRATCH_EN: 0
; COMPUTE_PGM_RSRC2:USER_SGPR: 6
; COMPUTE_PGM_RSRC2:TRAP_HANDLER: 0
; COMPUTE_PGM_RSRC2:TGID_X_EN: 1
; COMPUTE_PGM_RSRC2:TGID_Y_EN: 0
; COMPUTE_PGM_RSRC2:TGID_Z_EN: 0
; COMPUTE_PGM_RSRC2:TIDIG_COMP_CNT: 0
	.text
	.p2alignl 6, 3214868480
	.fill 48, 4, 3214868480
	.type	__hip_cuid_b70f66ffffd9c6c3,@object ; @__hip_cuid_b70f66ffffd9c6c3
	.section	.bss,"aw",@nobits
	.globl	__hip_cuid_b70f66ffffd9c6c3
__hip_cuid_b70f66ffffd9c6c3:
	.byte	0                               ; 0x0
	.size	__hip_cuid_b70f66ffffd9c6c3, 1

	.ident	"AMD clang version 19.0.0git (https://github.com/RadeonOpenCompute/llvm-project roc-6.4.0 25133 c7fe45cf4b819c5991fe208aaa96edf142730f1d)"
	.section	".note.GNU-stack","",@progbits
	.addrsig
	.addrsig_sym __hip_cuid_b70f66ffffd9c6c3
	.amdgpu_metadata
---
amdhsa.kernels:
  - .args:
      - .actual_access:  read_only
        .address_space:  global
        .offset:         0
        .size:           8
        .value_kind:     global_buffer
      - .actual_access:  read_only
        .address_space:  global
        .offset:         8
        .size:           8
        .value_kind:     global_buffer
      - .actual_access:  read_only
        .address_space:  global
        .offset:         16
        .size:           8
        .value_kind:     global_buffer
      - .actual_access:  read_only
        .address_space:  global
        .offset:         24
        .size:           8
        .value_kind:     global_buffer
      - .actual_access:  read_only
        .address_space:  global
        .offset:         32
        .size:           8
        .value_kind:     global_buffer
      - .offset:         40
        .size:           8
        .value_kind:     by_value
      - .address_space:  global
        .offset:         48
        .size:           8
        .value_kind:     global_buffer
      - .address_space:  global
        .offset:         56
        .size:           8
        .value_kind:     global_buffer
      - .address_space:  global
        .offset:         64
        .size:           8
        .value_kind:     global_buffer
      - .address_space:  global
        .offset:         72
        .size:           8
        .value_kind:     global_buffer
      - .offset:         80
        .size:           4
        .value_kind:     by_value
      - .address_space:  global
        .offset:         88
        .size:           8
        .value_kind:     global_buffer
      - .address_space:  global
        .offset:         96
        .size:           8
        .value_kind:     global_buffer
    .group_segment_fixed_size: 10164
    .kernarg_segment_align: 8
    .kernarg_segment_size: 104
    .language:       OpenCL C
    .language_version:
      - 2
      - 0
    .max_flat_workgroup_size: 231
    .name:           bluestein_single_fwd_len847_dim1_half_op_CI_CI
    .private_segment_fixed_size: 0
    .sgpr_count:     22
    .sgpr_spill_count: 0
    .symbol:         bluestein_single_fwd_len847_dim1_half_op_CI_CI.kd
    .uniform_work_group_size: 1
    .uses_dynamic_stack: false
    .vgpr_count:     174
    .vgpr_spill_count: 0
    .wavefront_size: 32
    .workgroup_processor_mode: 1
amdhsa.target:   amdgcn-amd-amdhsa--gfx1030
amdhsa.version:
  - 1
  - 2
...

	.end_amdgpu_metadata
